;; amdgpu-corpus repo=ROCm/rocBLAS kind=compiled arch=gfx1250 opt=O3
	.amdgcn_target "amdgcn-amd-amdhsa--gfx1250"
	.amdhsa_code_object_version 6
	.section	.text._ZL19rocblas_sbmv_kernelILb1ELi64ELi16EPKfS1_PfEviiT2_lT3_lllS4_lllS3_lT4_llli,"axG",@progbits,_ZL19rocblas_sbmv_kernelILb1ELi64ELi16EPKfS1_PfEviiT2_lT3_lllS4_lllS3_lT4_llli,comdat
	.globl	_ZL19rocblas_sbmv_kernelILb1ELi64ELi16EPKfS1_PfEviiT2_lT3_lllS4_lllS3_lT4_llli ; -- Begin function _ZL19rocblas_sbmv_kernelILb1ELi64ELi16EPKfS1_PfEviiT2_lT3_lllS4_lllS3_lT4_llli
	.p2align	8
	.type	_ZL19rocblas_sbmv_kernelILb1ELi64ELi16EPKfS1_PfEviiT2_lT3_lllS4_lllS3_lT4_llli,@function
_ZL19rocblas_sbmv_kernelILb1ELi64ELi16EPKfS1_PfEviiT2_lT3_lllS4_lllS3_lT4_llli: ; @_ZL19rocblas_sbmv_kernelILb1ELi64ELi16EPKfS1_PfEviiT2_lT3_lllS4_lllS3_lT4_llli
; %bb.0:
	s_load_b64 s[2:3], s[0:1], 0x9c
	s_wait_kmcnt 0x0
	s_lshr_b32 s4, s2, 16
	s_and_b32 s2, s2, 0xffff
	s_and_b32 s3, s3, 0xffff
	s_mul_i32 s4, s4, s2
	s_delay_alu instid0(SALU_CYCLE_1) | instskip(NEXT) | instid1(SALU_CYCLE_1)
	s_mul_i32 s4, s4, s3
	s_cmp_lg_u32 s4, 0x400
	s_cbranch_scc1 .LBB0_35
; %bb.1:
	s_load_b32 s26, s[0:1], 0x88
	s_bfe_u32 s3, ttmp6, 0x40014
	s_lshr_b32 s4, ttmp7, 16
	s_add_co_i32 s3, s3, 1
	s_bfe_u32 s6, ttmp6, 0x40008
	s_mul_i32 s5, s4, s3
	s_getreg_b32 s3, hwreg(HW_REG_IB_STS2, 6, 4)
	s_add_co_i32 s6, s6, s5
	s_cmp_eq_u32 s3, 0
	s_mov_b32 s21, 0
	s_cselect_b32 s20, s4, s6
	s_wait_kmcnt 0x0
	s_cmp_ge_u32 s20, s26
	s_cbranch_scc1 .LBB0_35
; %bb.2:
	s_clause 0x1
	s_load_b512 s[4:19], s[0:1], 0x8
	s_load_b512 s[36:51], s[0:1], 0x48
	v_and_b32_e32 v2, 0x3ff, v0
	v_bfe_u32 v0, v0, 10, 10
	s_bfe_u32 s22, ttmp6, 0x4000c
	s_and_b32 s23, ttmp6, 15
	s_add_co_i32 s22, s22, 1
	s_delay_alu instid0(VALU_DEP_1) | instskip(SKIP_3) | instid1(VALU_DEP_2)
	v_mad_u32_u24 v0, v0, s2, v2
	s_mul_i32 s22, ttmp9, s22
	v_mov_b32_e32 v1, 0
	s_add_co_i32 s2, s23, s22
	v_dual_lshrrev_b32 v2, 6, v0 :: v_dual_bitop2_b32 v14, 63, v0 bitop3:0x40
	s_delay_alu instid0(VALU_DEP_2)
	v_mov_b32_e32 v3, v1
	v_cmp_gt_u32_e32 vcc_lo, 64, v0
	s_wait_kmcnt 0x0
	s_lshl_b64 s[22:23], s[10:11], 2
	s_lshl_b64 s[18:19], s[18:19], 2
	;; [unrolled: 1-line block ×3, first 2 shown]
	s_cmp_eq_u32 s3, 0
	v_mul_u64_e32 v[12:13], s[12:13], v[2:3]
	s_cselect_b32 s2, ttmp9, s2
	s_load_b64 s[10:11], s[0:1], 0x0
	s_lshl_b32 s3, s2, 6
	s_add_nc_u64 s[8:9], s[8:9], s[22:23]
	v_dual_add_nc_u32 v10, s3, v0 :: v_dual_bitop2_b32 v4, s3, v14 bitop3:0x54
	s_add_nc_u64 s[16:17], s[16:17], s[18:19]
	s_add_nc_u64 s[18:19], s[44:45], s[24:25]
	s_lshl_b64 s[22:23], s[14:15], 2
	s_delay_alu instid0(VALU_DEP_1) | instskip(NEXT) | instid1(VALU_DEP_1)
	v_dual_ashrrev_i32 v11, 31, v10 :: v_dual_ashrrev_i32 v5, 31, v4
	v_mul_u64_e32 v[6:7], s[48:49], v[10:11]
	s_delay_alu instid0(VALU_DEP_2)
	v_mul_u64_e32 v[8:9], s[12:13], v[4:5]
	v_lshlrev_b32_e32 v5, 2, v0
	s_lshl_b64 s[12:13], s[12:13], 6
	s_wait_kmcnt 0x0
	v_add3_u32 v15, s11, s3, v14
	v_sub_nc_u32_e32 v14, s11, v14
	v_cmp_gt_i32_e64 s2, s10, v10
	v_cmp_gt_i32_e64 s0, s10, v2
	;; [unrolled: 1-line block ×3, first 2 shown]
	s_and_b32 s11, vcc_lo, s2
	v_lshl_add_u64 v[10:11], v[12:13], 2, s[8:9]
	v_sub_nc_u32_e32 v13, v15, v2
	v_subrev_nc_u32_e32 v12, s3, v14
	s_branch .LBB0_5
.LBB0_3:                                ;   in Loop: Header=BB0_5 Depth=1
	s_wait_xcnt 0x0
	s_or_b32 exec_lo, exec_lo, s24
.LBB0_4:                                ;   in Loop: Header=BB0_5 Depth=1
	s_add_co_i32 s20, s20, 0x10000
	s_delay_alu instid0(SALU_CYCLE_1)
	s_cmp_lt_u32 s20, s26
	s_cbranch_scc0 .LBB0_35
.LBB0_5:                                ; =>This Loop Header: Depth=1
                                        ;     Child Loop BB0_18 Depth 2
	s_mul_u64 s[2:3], s[6:7], s[20:21]
	s_wait_xcnt 0x0
	s_mul_u64 s[24:25], s[42:43], s[20:21]
	s_lshl_b64 s[2:3], s[2:3], 2
	s_lshl_b64 s[24:25], s[24:25], 2
	s_add_nc_u64 s[2:3], s[4:5], s[2:3]
	s_add_nc_u64 s[24:25], s[40:41], s[24:25]
	s_clause 0x1
	global_load_b32 v28, v1, s[2:3]
	global_load_b32 v0, v1, s[24:25]
	s_wait_loadcnt 0x1
	v_cmp_eq_f32_e32 vcc_lo, 0, v28
	s_wait_loadcnt 0x0
	s_wait_xcnt 0x1
	v_cmp_eq_f32_e64 s2, 1.0, v0
	v_readfirstlane_b32 s27, v0
	s_and_b32 s2, vcc_lo, s2
	s_delay_alu instid0(SALU_CYCLE_1)
	s_and_b32 vcc_lo, exec_lo, s2
	s_cbranch_vccnz .LBB0_4
; %bb.6:                                ;   in Loop: Header=BB0_5 Depth=1
	v_cmp_neq_f32_e32 vcc_lo, 0, v28
	s_mul_u64 s[2:3], s[50:51], s[20:21]
	s_delay_alu instid0(SALU_CYCLE_1) | instskip(NEXT) | instid1(SALU_CYCLE_1)
	s_lshl_b64 s[2:3], s[2:3], 2
	s_add_nc_u64 s[2:3], s[18:19], s[2:3]
	s_cbranch_vccnz .LBB0_10
; %bb.7:                                ;   in Loop: Header=BB0_5 Depth=1
	s_wait_xcnt 0x0
	s_mov_b32 s24, 0
	s_mov_b32 s28, 0
                                        ; implicit-def: $vgpr0
	s_and_saveexec_b32 s25, s11
	s_cbranch_execz .LBB0_11
; %bb.8:                                ;   in Loop: Header=BB0_5 Depth=1
	s_cmp_eq_f32 s27, 0
	s_cbranch_scc1 .LBB0_12
; %bb.9:                                ;   in Loop: Header=BB0_5 Depth=1
	v_lshl_add_u64 v[14:15], v[6:7], 2, s[2:3]
	global_load_b32 v0, v[14:15], off
	s_wait_loadcnt 0x0
	v_mul_f32_e32 v0, s27, v0
	s_branch .LBB0_13
.LBB0_10:                               ;   in Loop: Header=BB0_5 Depth=1
	s_wait_xcnt 0x0
	s_mov_b32 s28, 0
                                        ; implicit-def: $vgpr0
	s_cbranch_execnz .LBB0_14
	s_branch .LBB0_33
.LBB0_11:                               ;   in Loop: Header=BB0_5 Depth=1
	s_or_b32 exec_lo, exec_lo, s25
	s_delay_alu instid0(SALU_CYCLE_1)
	s_and_b32 vcc_lo, exec_lo, s24
	s_cbranch_vccnz .LBB0_14
	s_branch .LBB0_33
.LBB0_12:                               ;   in Loop: Header=BB0_5 Depth=1
	v_mov_b32_e32 v0, 0
.LBB0_13:                               ;   in Loop: Header=BB0_5 Depth=1
	s_mov_b32 s28, exec_lo
	s_wait_xcnt 0x0
	s_or_b32 exec_lo, exec_lo, s25
	s_delay_alu instid0(SALU_CYCLE_1)
	s_and_b32 vcc_lo, exec_lo, s24
	s_cbranch_vccz .LBB0_33
.LBB0_14:                               ;   in Loop: Header=BB0_5 Depth=1
	v_mov_b32_e32 v29, 0
	s_and_saveexec_b32 s29, s0
	s_cbranch_execz .LBB0_28
; %bb.15:                               ;   in Loop: Header=BB0_5 Depth=1
	v_mad_nc_u64_u32 v[14:15], s22, s20, v[10:11]
	s_mul_u64 s[24:25], s[14:15], s[20:21]
	v_mov_b64_e32 v[18:19], v[2:3]
	s_lshl_b64 s[24:25], s[24:25], 2
	s_mul_u64 s[30:31], s[38:39], s[20:21]
	s_add_nc_u64 s[24:25], s[8:9], s[24:25]
	v_dual_mov_b32 v29, 0 :: v_dual_mov_b32 v0, v13
	v_lshl_add_u64 v[16:17], v[8:9], 2, s[24:25]
	v_mov_b32_e32 v20, v2
	s_lshl_b64 s[30:31], s[30:31], 2
	v_mad_u32 v15, s23, s20, v15
	s_add_nc_u64 s[24:25], s[16:17], s[30:31]
	s_mov_b32 s30, 0
	s_branch .LBB0_18
.LBB0_16:                               ;   in Loop: Header=BB0_18 Depth=2
	s_wait_xcnt 0x0
	s_or_b32 exec_lo, exec_lo, s34
.LBB0_17:                               ;   in Loop: Header=BB0_18 Depth=2
	s_delay_alu instid0(SALU_CYCLE_1) | instskip(SKIP_1) | instid1(VALU_DEP_2)
	s_or_b32 exec_lo, exec_lo, s31
	v_add_nc_u64_e32 v[18:19], 16, v[18:19]
	v_add_nc_u64_e32 v[14:15], s[12:13], v[14:15]
	v_add_nc_u32_e32 v20, 16, v20
	v_add_nc_u32_e32 v0, -16, v0
	s_delay_alu instid0(VALU_DEP_4) | instskip(SKIP_1) | instid1(SALU_CYCLE_1)
	v_cmp_le_i32_e32 vcc_lo, s10, v18
	s_or_b32 s30, vcc_lo, s30
	s_and_not1_b32 exec_lo, exec_lo, s30
	s_cbranch_execz .LBB0_27
.LBB0_18:                               ;   Parent Loop BB0_5 Depth=1
                                        ; =>  This Inner Loop Header: Depth=2
	s_and_saveexec_b32 s31, s1
	s_cbranch_execz .LBB0_17
; %bb.19:                               ;   in Loop: Header=BB0_18 Depth=2
	s_mov_b32 s33, 0
	s_mov_b32 s34, exec_lo
                                        ; implicit-def: $vgpr22_vgpr23
	v_cmpx_le_i32_e64 v4, v18
	s_xor_b32 s34, exec_lo, s34
	s_cbranch_execnz .LBB0_22
; %bb.20:                               ;   in Loop: Header=BB0_18 Depth=2
	s_or_saveexec_b32 s34, s34
	v_mov_b64_e32 v[24:25], v[18:19]
	s_xor_b32 exec_lo, exec_lo, s34
	s_cbranch_execnz .LBB0_23
.LBB0_21:                               ;   in Loop: Header=BB0_18 Depth=2
	s_or_b32 exec_lo, exec_lo, s34
	s_and_saveexec_b32 s34, s33
	s_cbranch_execz .LBB0_16
	s_branch .LBB0_26
.LBB0_22:                               ;   in Loop: Header=BB0_18 Depth=2
	v_cmp_lt_i32_e32 vcc_lo, -1, v0
	v_lshl_add_u64 v[22:23], v[0:1], 2, v[14:15]
	s_and_b32 s33, vcc_lo, exec_lo
	s_or_saveexec_b32 s34, s34
	v_mov_b64_e32 v[24:25], v[18:19]
	s_xor_b32 exec_lo, exec_lo, s34
	s_cbranch_execz .LBB0_21
.LBB0_23:                               ;   in Loop: Header=BB0_18 Depth=2
	v_add_nc_u32_e32 v26, v12, v18
	s_mov_b32 s44, s33
	s_mov_b32 s35, exec_lo
                                        ; implicit-def: $vgpr22_vgpr23
                                        ; implicit-def: $vgpr24_vgpr25
	s_delay_alu instid0(VALU_DEP_1)
	v_cmpx_lt_i32_e32 -1, v26
; %bb.24:                               ;   in Loop: Header=BB0_18 Depth=2
	v_dual_mov_b32 v27, v1 :: v_dual_mov_b32 v21, v1
	s_or_b32 s44, s33, exec_lo
	s_delay_alu instid0(VALU_DEP_1) | instskip(NEXT) | instid1(VALU_DEP_2)
	v_lshl_add_u64 v[22:23], v[26:27], 2, v[16:17]
	v_mov_b64_e32 v[24:25], v[20:21]
; %bb.25:                               ;   in Loop: Header=BB0_18 Depth=2
	s_or_b32 exec_lo, exec_lo, s35
	s_delay_alu instid0(SALU_CYCLE_1) | instskip(SKIP_1) | instid1(SALU_CYCLE_1)
	s_and_not1_b32 s33, s33, exec_lo
	s_and_b32 s35, s44, exec_lo
	s_or_b32 s33, s33, s35
	s_or_b32 exec_lo, exec_lo, s34
	s_and_saveexec_b32 s34, s33
	s_cbranch_execz .LBB0_16
.LBB0_26:                               ;   in Loop: Header=BB0_18 Depth=2
	v_mul_u64_e32 v[24:25], s[36:37], v[24:25]
	s_delay_alu instid0(VALU_DEP_1)
	v_lshl_add_u64 v[24:25], v[24:25], 2, s[24:25]
	global_load_b32 v21, v[22:23], off
	global_load_b32 v26, v[24:25], off
	s_wait_loadcnt 0x0
	v_fmac_f32_e32 v29, v21, v26
	s_branch .LBB0_16
.LBB0_27:                               ;   in Loop: Header=BB0_5 Depth=1
	s_or_b32 exec_lo, exec_lo, s30
.LBB0_28:                               ;   in Loop: Header=BB0_5 Depth=1
	s_delay_alu instid0(SALU_CYCLE_1)
	s_or_b32 exec_lo, exec_lo, s29
	ds_store_b32 v5, v29
	s_wait_dscnt 0x0
	s_barrier_signal -1
	s_barrier_wait -1
                                        ; implicit-def: $vgpr0
	s_and_saveexec_b32 s24, s11
	s_cbranch_execz .LBB0_32
; %bb.29:                               ;   in Loop: Header=BB0_5 Depth=1
	ds_load_2addr_stride64_b32 v[14:15], v5 offset1:1
	ds_load_2addr_stride64_b32 v[16:17], v5 offset0:2 offset1:3
	ds_load_2addr_stride64_b32 v[18:19], v5 offset0:4 offset1:5
	ds_load_2addr_stride64_b32 v[20:21], v5 offset0:6 offset1:7
	s_cmp_eq_f32 s27, 0
	s_wait_dscnt 0x3
	v_add_f32_e32 v0, v14, v15
	ds_load_2addr_stride64_b32 v[14:15], v5 offset0:8 offset1:9
	s_wait_dscnt 0x3
	v_add_f32_e32 v0, v16, v0
	s_delay_alu instid0(VALU_DEP_1) | instskip(SKIP_3) | instid1(VALU_DEP_1)
	v_add_f32_e32 v0, v17, v0
	ds_load_2addr_stride64_b32 v[16:17], v5 offset0:10 offset1:11
	s_wait_dscnt 0x3
	v_add_f32_e32 v0, v18, v0
	v_add_f32_e32 v0, v19, v0
	s_wait_dscnt 0x2
	s_delay_alu instid0(VALU_DEP_1) | instskip(NEXT) | instid1(VALU_DEP_1)
	v_add_f32_e32 v0, v20, v0
	v_add_f32_e32 v0, v21, v0
	ds_load_2addr_stride64_b32 v[18:19], v5 offset0:12 offset1:13
	ds_load_2addr_stride64_b32 v[20:21], v5 offset0:14 offset1:15
	s_wait_dscnt 0x3
	v_add_f32_e32 v0, v14, v0
	s_delay_alu instid0(VALU_DEP_1) | instskip(SKIP_1) | instid1(VALU_DEP_1)
	v_add_f32_e32 v0, v15, v0
	s_wait_dscnt 0x2
	v_add_f32_e32 v0, v16, v0
	s_delay_alu instid0(VALU_DEP_1) | instskip(SKIP_1) | instid1(VALU_DEP_1)
	v_add_f32_e32 v0, v17, v0
	;; [unrolled: 4-line block ×3, first 2 shown]
	s_wait_dscnt 0x0
	v_add_f32_e32 v0, v20, v0
	s_delay_alu instid0(VALU_DEP_1) | instskip(NEXT) | instid1(VALU_DEP_1)
	v_add_f32_e32 v14, v21, v0
	v_mul_f32_e32 v0, v28, v14
	ds_store_b32 v5, v14
	s_cbranch_scc1 .LBB0_31
; %bb.30:                               ;   in Loop: Header=BB0_5 Depth=1
	v_lshl_add_u64 v[14:15], v[6:7], 2, s[2:3]
	global_load_b32 v14, v[14:15], off
	s_wait_loadcnt 0x0
	v_fmac_f32_e32 v0, s27, v14
.LBB0_31:                               ;   in Loop: Header=BB0_5 Depth=1
	s_or_b32 s28, s28, exec_lo
.LBB0_32:                               ;   in Loop: Header=BB0_5 Depth=1
	s_wait_xcnt 0x0
	s_or_b32 exec_lo, exec_lo, s24
.LBB0_33:                               ;   in Loop: Header=BB0_5 Depth=1
	s_and_saveexec_b32 s24, s28
	s_cbranch_execz .LBB0_3
; %bb.34:                               ;   in Loop: Header=BB0_5 Depth=1
	v_lshl_add_u64 v[14:15], v[6:7], 2, s[2:3]
	global_store_b32 v[14:15], v0, off
	s_branch .LBB0_3
.LBB0_35:
	s_endpgm
	.section	.rodata,"a",@progbits
	.p2align	6, 0x0
	.amdhsa_kernel _ZL19rocblas_sbmv_kernelILb1ELi64ELi16EPKfS1_PfEviiT2_lT3_lllS4_lllS3_lT4_llli
		.amdhsa_group_segment_fixed_size 4096
		.amdhsa_private_segment_fixed_size 0
		.amdhsa_kernarg_size 400
		.amdhsa_user_sgpr_count 2
		.amdhsa_user_sgpr_dispatch_ptr 0
		.amdhsa_user_sgpr_queue_ptr 0
		.amdhsa_user_sgpr_kernarg_segment_ptr 1
		.amdhsa_user_sgpr_dispatch_id 0
		.amdhsa_user_sgpr_kernarg_preload_length 0
		.amdhsa_user_sgpr_kernarg_preload_offset 0
		.amdhsa_user_sgpr_private_segment_size 0
		.amdhsa_wavefront_size32 1
		.amdhsa_uses_dynamic_stack 0
		.amdhsa_enable_private_segment 0
		.amdhsa_system_sgpr_workgroup_id_x 1
		.amdhsa_system_sgpr_workgroup_id_y 0
		.amdhsa_system_sgpr_workgroup_id_z 1
		.amdhsa_system_sgpr_workgroup_info 0
		.amdhsa_system_vgpr_workitem_id 1
		.amdhsa_next_free_vgpr 30
		.amdhsa_next_free_sgpr 52
		.amdhsa_named_barrier_count 0
		.amdhsa_reserve_vcc 1
		.amdhsa_float_round_mode_32 0
		.amdhsa_float_round_mode_16_64 0
		.amdhsa_float_denorm_mode_32 3
		.amdhsa_float_denorm_mode_16_64 3
		.amdhsa_fp16_overflow 0
		.amdhsa_memory_ordered 1
		.amdhsa_forward_progress 1
		.amdhsa_inst_pref_size 11
		.amdhsa_round_robin_scheduling 0
		.amdhsa_exception_fp_ieee_invalid_op 0
		.amdhsa_exception_fp_denorm_src 0
		.amdhsa_exception_fp_ieee_div_zero 0
		.amdhsa_exception_fp_ieee_overflow 0
		.amdhsa_exception_fp_ieee_underflow 0
		.amdhsa_exception_fp_ieee_inexact 0
		.amdhsa_exception_int_div_zero 0
	.end_amdhsa_kernel
	.section	.text._ZL19rocblas_sbmv_kernelILb1ELi64ELi16EPKfS1_PfEviiT2_lT3_lllS4_lllS3_lT4_llli,"axG",@progbits,_ZL19rocblas_sbmv_kernelILb1ELi64ELi16EPKfS1_PfEviiT2_lT3_lllS4_lllS3_lT4_llli,comdat
.Lfunc_end0:
	.size	_ZL19rocblas_sbmv_kernelILb1ELi64ELi16EPKfS1_PfEviiT2_lT3_lllS4_lllS3_lT4_llli, .Lfunc_end0-_ZL19rocblas_sbmv_kernelILb1ELi64ELi16EPKfS1_PfEviiT2_lT3_lllS4_lllS3_lT4_llli
                                        ; -- End function
	.set _ZL19rocblas_sbmv_kernelILb1ELi64ELi16EPKfS1_PfEviiT2_lT3_lllS4_lllS3_lT4_llli.num_vgpr, 30
	.set _ZL19rocblas_sbmv_kernelILb1ELi64ELi16EPKfS1_PfEviiT2_lT3_lllS4_lllS3_lT4_llli.num_agpr, 0
	.set _ZL19rocblas_sbmv_kernelILb1ELi64ELi16EPKfS1_PfEviiT2_lT3_lllS4_lllS3_lT4_llli.numbered_sgpr, 52
	.set _ZL19rocblas_sbmv_kernelILb1ELi64ELi16EPKfS1_PfEviiT2_lT3_lllS4_lllS3_lT4_llli.num_named_barrier, 0
	.set _ZL19rocblas_sbmv_kernelILb1ELi64ELi16EPKfS1_PfEviiT2_lT3_lllS4_lllS3_lT4_llli.private_seg_size, 0
	.set _ZL19rocblas_sbmv_kernelILb1ELi64ELi16EPKfS1_PfEviiT2_lT3_lllS4_lllS3_lT4_llli.uses_vcc, 1
	.set _ZL19rocblas_sbmv_kernelILb1ELi64ELi16EPKfS1_PfEviiT2_lT3_lllS4_lllS3_lT4_llli.uses_flat_scratch, 0
	.set _ZL19rocblas_sbmv_kernelILb1ELi64ELi16EPKfS1_PfEviiT2_lT3_lllS4_lllS3_lT4_llli.has_dyn_sized_stack, 0
	.set _ZL19rocblas_sbmv_kernelILb1ELi64ELi16EPKfS1_PfEviiT2_lT3_lllS4_lllS3_lT4_llli.has_recursion, 0
	.set _ZL19rocblas_sbmv_kernelILb1ELi64ELi16EPKfS1_PfEviiT2_lT3_lllS4_lllS3_lT4_llli.has_indirect_call, 0
	.section	.AMDGPU.csdata,"",@progbits
; Kernel info:
; codeLenInByte = 1352
; TotalNumSgprs: 54
; NumVgprs: 30
; ScratchSize: 0
; MemoryBound: 0
; FloatMode: 240
; IeeeMode: 1
; LDSByteSize: 4096 bytes/workgroup (compile time only)
; SGPRBlocks: 0
; VGPRBlocks: 1
; NumSGPRsForWavesPerEU: 54
; NumVGPRsForWavesPerEU: 30
; NamedBarCnt: 0
; Occupancy: 16
; WaveLimiterHint : 1
; COMPUTE_PGM_RSRC2:SCRATCH_EN: 0
; COMPUTE_PGM_RSRC2:USER_SGPR: 2
; COMPUTE_PGM_RSRC2:TRAP_HANDLER: 0
; COMPUTE_PGM_RSRC2:TGID_X_EN: 1
; COMPUTE_PGM_RSRC2:TGID_Y_EN: 0
; COMPUTE_PGM_RSRC2:TGID_Z_EN: 1
; COMPUTE_PGM_RSRC2:TIDIG_COMP_CNT: 1
	.section	.text._ZL19rocblas_sbmv_kernelILb0ELi64ELi16EPKfS1_PfEviiT2_lT3_lllS4_lllS3_lT4_llli,"axG",@progbits,_ZL19rocblas_sbmv_kernelILb0ELi64ELi16EPKfS1_PfEviiT2_lT3_lllS4_lllS3_lT4_llli,comdat
	.globl	_ZL19rocblas_sbmv_kernelILb0ELi64ELi16EPKfS1_PfEviiT2_lT3_lllS4_lllS3_lT4_llli ; -- Begin function _ZL19rocblas_sbmv_kernelILb0ELi64ELi16EPKfS1_PfEviiT2_lT3_lllS4_lllS3_lT4_llli
	.p2align	8
	.type	_ZL19rocblas_sbmv_kernelILb0ELi64ELi16EPKfS1_PfEviiT2_lT3_lllS4_lllS3_lT4_llli,@function
_ZL19rocblas_sbmv_kernelILb0ELi64ELi16EPKfS1_PfEviiT2_lT3_lllS4_lllS3_lT4_llli: ; @_ZL19rocblas_sbmv_kernelILb0ELi64ELi16EPKfS1_PfEviiT2_lT3_lllS4_lllS3_lT4_llli
; %bb.0:
	s_load_b64 s[2:3], s[0:1], 0x9c
	s_wait_kmcnt 0x0
	s_lshr_b32 s4, s2, 16
	s_and_b32 s2, s2, 0xffff
	s_and_b32 s3, s3, 0xffff
	s_mul_i32 s4, s4, s2
	s_delay_alu instid0(SALU_CYCLE_1) | instskip(NEXT) | instid1(SALU_CYCLE_1)
	s_mul_i32 s4, s4, s3
	s_cmp_lg_u32 s4, 0x400
	s_cbranch_scc1 .LBB1_35
; %bb.1:
	s_load_b32 s26, s[0:1], 0x88
	s_bfe_u32 s3, ttmp6, 0x40014
	s_lshr_b32 s4, ttmp7, 16
	s_add_co_i32 s3, s3, 1
	s_bfe_u32 s6, ttmp6, 0x40008
	s_mul_i32 s5, s4, s3
	s_getreg_b32 s3, hwreg(HW_REG_IB_STS2, 6, 4)
	s_add_co_i32 s6, s6, s5
	s_cmp_eq_u32 s3, 0
	s_mov_b32 s21, 0
	s_cselect_b32 s20, s4, s6
	s_wait_kmcnt 0x0
	s_cmp_ge_u32 s20, s26
	s_cbranch_scc1 .LBB1_35
; %bb.2:
	s_clause 0x1
	s_load_b512 s[4:19], s[0:1], 0x8
	s_load_b512 s[36:51], s[0:1], 0x48
	s_bfe_u32 s22, ttmp6, 0x4000c
	v_and_b32_e32 v1, 0x3ff, v0
	v_bfe_u32 v0, v0, 10, 10
	s_add_co_i32 s22, s22, 1
	s_and_b32 s23, ttmp6, 15
	s_mul_i32 s22, ttmp9, s22
	s_delay_alu instid0(VALU_DEP_1) | instskip(SKIP_1) | instid1(VALU_DEP_1)
	v_mad_u32_u24 v1, v0, s2, v1
	s_add_co_i32 s2, s23, s22
	v_cmp_gt_u32_e32 vcc_lo, 64, v1
	s_wait_kmcnt 0x0
	s_lshl_b64 s[22:23], s[10:11], 2
	s_lshl_b64 s[24:25], s[18:19], 2
	;; [unrolled: 1-line block ×3, first 2 shown]
	s_cmp_eq_u32 s3, 0
	s_load_b64 s[10:11], s[0:1], 0x0
	s_cselect_b32 s2, ttmp9, s2
	s_add_nc_u64 s[18:19], s[8:9], s[22:23]
	s_wait_xcnt 0x0
	s_lshl_b32 s0, s2, 6
	s_delay_alu instid0(SALU_CYCLE_1) | instskip(SKIP_4) | instid1(VALU_DEP_1)
	v_dual_lshrrev_b32 v0, 6, v1 :: v_dual_add_nc_u32 v8, s0, v1
	v_and_or_b32 v2, v1, 63, s0
	s_lshl_b64 s[0:1], s[12:13], 2
	s_lshl_b64 s[2:3], s[12:13], 6
	s_add_nc_u64 s[0:1], s[0:1], -4
	v_dual_ashrrev_i32 v9, 31, v8 :: v_dual_ashrrev_i32 v3, 31, v2
	v_mad_nc_u64_u32 v[10:11], v0, s0, s[22:23]
	v_sub_nc_u32_e32 v13, v2, v0
	s_add_nc_u64 s[16:17], s[16:17], s[24:25]
	s_delay_alu instid0(VALU_DEP_3)
	v_mul_u64_e32 v[4:5], s[48:49], v[8:9]
	v_mul_u64_e32 v[6:7], s[12:13], v[2:3]
	v_mov_b32_e32 v9, 0
	s_mov_b64 s[12:13], 0xffffffffffffffc0
	s_add_nc_u64 s[22:23], s[44:45], s[28:29]
	s_wait_kmcnt 0x0
	v_cmp_gt_i32_e64 s0, s10, v8
	s_add_nc_u64 s[12:13], s[2:3], s[12:13]
	v_sub_nc_u32_e32 v12, 0, v2
	v_mad_u32 v11, v0, s1, v11
	v_cmp_gt_i32_e64 s1, s10, v2
	s_and_b32 s27, vcc_lo, s0
	v_cmp_gt_i32_e64 s0, s10, v0
	v_lshl_add_u64 v[10:11], v[2:3], 2, v[10:11]
	v_dual_lshlrev_b32 v3, 2, v1 :: v_dual_mov_b32 v1, v9
	s_delay_alu instid0(VALU_DEP_2)
	v_add_nc_u64_e32 v[10:11], s[8:9], v[10:11]
	s_lshl_b64 s[8:9], s[14:15], 2
	s_branch .LBB1_5
.LBB1_3:                                ;   in Loop: Header=BB1_5 Depth=1
	s_wait_xcnt 0x0
	s_or_b32 exec_lo, exec_lo, s24
.LBB1_4:                                ;   in Loop: Header=BB1_5 Depth=1
	s_add_co_i32 s20, s20, 0x10000
	s_delay_alu instid0(SALU_CYCLE_1)
	s_cmp_lt_u32 s20, s26
	s_cbranch_scc0 .LBB1_35
.LBB1_5:                                ; =>This Loop Header: Depth=1
                                        ;     Child Loop BB1_18 Depth 2
	s_mul_u64 s[2:3], s[6:7], s[20:21]
	s_wait_xcnt 0x0
	s_mul_u64 s[24:25], s[42:43], s[20:21]
	s_lshl_b64 s[2:3], s[2:3], 2
	s_lshl_b64 s[24:25], s[24:25], 2
	s_add_nc_u64 s[2:3], s[4:5], s[2:3]
	s_add_nc_u64 s[24:25], s[40:41], s[24:25]
	s_clause 0x1
	global_load_b32 v24, v9, s[2:3]
	global_load_b32 v8, v9, s[24:25]
	s_wait_loadcnt 0x1
	v_cmp_eq_f32_e32 vcc_lo, 0, v24
	s_wait_loadcnt 0x0
	s_wait_xcnt 0x1
	v_cmp_eq_f32_e64 s2, 1.0, v8
	v_readfirstlane_b32 s28, v8
	s_and_b32 s2, vcc_lo, s2
	s_delay_alu instid0(SALU_CYCLE_1)
	s_and_b32 vcc_lo, exec_lo, s2
	s_cbranch_vccnz .LBB1_4
; %bb.6:                                ;   in Loop: Header=BB1_5 Depth=1
	v_cmp_neq_f32_e32 vcc_lo, 0, v24
	s_mul_u64 s[2:3], s[50:51], s[20:21]
	s_delay_alu instid0(SALU_CYCLE_1) | instskip(NEXT) | instid1(SALU_CYCLE_1)
	s_lshl_b64 s[2:3], s[2:3], 2
	s_add_nc_u64 s[2:3], s[22:23], s[2:3]
	s_cbranch_vccnz .LBB1_10
; %bb.7:                                ;   in Loop: Header=BB1_5 Depth=1
	s_wait_xcnt 0x0
	s_mov_b32 s24, 0
	s_mov_b32 s29, 0
                                        ; implicit-def: $vgpr8
	s_and_saveexec_b32 s25, s27
	s_cbranch_execz .LBB1_11
; %bb.8:                                ;   in Loop: Header=BB1_5 Depth=1
	s_cmp_eq_f32 s28, 0
	s_cbranch_scc1 .LBB1_12
; %bb.9:                                ;   in Loop: Header=BB1_5 Depth=1
	v_lshl_add_u64 v[14:15], v[4:5], 2, s[2:3]
	global_load_b32 v8, v[14:15], off
	s_wait_loadcnt 0x0
	v_mul_f32_e32 v8, s28, v8
	s_branch .LBB1_13
.LBB1_10:                               ;   in Loop: Header=BB1_5 Depth=1
	s_wait_xcnt 0x0
	s_mov_b32 s29, 0
                                        ; implicit-def: $vgpr8
	s_cbranch_execnz .LBB1_14
	s_branch .LBB1_33
.LBB1_11:                               ;   in Loop: Header=BB1_5 Depth=1
	s_or_b32 exec_lo, exec_lo, s25
	s_delay_alu instid0(SALU_CYCLE_1)
	s_and_b32 vcc_lo, exec_lo, s24
	s_cbranch_vccnz .LBB1_14
	s_branch .LBB1_33
.LBB1_12:                               ;   in Loop: Header=BB1_5 Depth=1
	v_mov_b32_e32 v8, 0
.LBB1_13:                               ;   in Loop: Header=BB1_5 Depth=1
	s_mov_b32 s29, exec_lo
	s_wait_xcnt 0x0
	s_or_b32 exec_lo, exec_lo, s25
	s_delay_alu instid0(SALU_CYCLE_1)
	s_and_b32 vcc_lo, exec_lo, s24
	s_cbranch_vccz .LBB1_33
.LBB1_14:                               ;   in Loop: Header=BB1_5 Depth=1
	v_mov_b32_e32 v25, 0
	s_and_saveexec_b32 s30, s0
	s_cbranch_execz .LBB1_28
; %bb.15:                               ;   in Loop: Header=BB1_5 Depth=1
	v_mad_nc_u64_u32 v[14:15], s8, s20, v[10:11]
	s_mul_u64 s[24:25], s[14:15], s[20:21]
	v_mov_b64_e32 v[18:19], v[0:1]
	s_lshl_b64 s[24:25], s[24:25], 2
	s_mul_u64 s[34:35], s[38:39], s[20:21]
	s_add_nc_u64 s[24:25], s[18:19], s[24:25]
	v_dual_mov_b32 v25, 0 :: v_dual_mov_b32 v26, v13
	v_lshl_add_u64 v[16:17], v[6:7], 2, s[24:25]
	v_mov_b32_e32 v8, v0
	s_lshl_b64 s[34:35], s[34:35], 2
	v_mad_u32 v15, s9, s20, v15
	s_add_nc_u64 s[24:25], s[16:17], s[34:35]
	s_mov_b32 s31, 0
	s_branch .LBB1_18
.LBB1_16:                               ;   in Loop: Header=BB1_18 Depth=2
	s_wait_xcnt 0x0
	s_or_b32 exec_lo, exec_lo, s35
.LBB1_17:                               ;   in Loop: Header=BB1_18 Depth=2
	s_delay_alu instid0(SALU_CYCLE_1) | instskip(SKIP_1) | instid1(VALU_DEP_2)
	s_or_b32 exec_lo, exec_lo, s33
	v_add_nc_u64_e32 v[18:19], 16, v[18:19]
	v_add_nc_u64_e32 v[14:15], s[12:13], v[14:15]
	v_dual_add_nc_u32 v8, 16, v8 :: v_dual_add_nc_u32 v26, -16, v26
	s_delay_alu instid0(VALU_DEP_3) | instskip(SKIP_1) | instid1(SALU_CYCLE_1)
	v_cmp_le_i32_e32 vcc_lo, s10, v18
	s_or_b32 s31, vcc_lo, s31
	s_and_not1_b32 exec_lo, exec_lo, s31
	s_cbranch_execz .LBB1_27
.LBB1_18:                               ;   Parent Loop BB1_5 Depth=1
                                        ; =>  This Inner Loop Header: Depth=2
	s_and_saveexec_b32 s33, s1
	s_cbranch_execz .LBB1_17
; %bb.19:                               ;   in Loop: Header=BB1_18 Depth=2
	s_mov_b32 s34, 0
	s_mov_b32 s35, exec_lo
	v_cmpx_ge_i32_e64 v2, v18
	s_xor_b32 s35, exec_lo, s35
; %bb.20:                               ;   in Loop: Header=BB1_18 Depth=2
	v_cmp_ge_i32_e32 vcc_lo, s11, v26
	s_and_b32 s34, vcc_lo, exec_lo
; %bb.21:                               ;   in Loop: Header=BB1_18 Depth=2
	s_or_saveexec_b32 s35, s35
	v_mov_b64_e32 v[20:21], v[14:15]
	v_mov_b64_e32 v[22:23], v[18:19]
	s_xor_b32 exec_lo, exec_lo, s35
	s_cbranch_execz .LBB1_25
; %bb.22:                               ;   in Loop: Header=BB1_18 Depth=2
	v_add_nc_u32_e32 v20, v12, v18
	s_mov_b32 s45, s34
                                        ; implicit-def: $vgpr22_vgpr23
	s_delay_alu instid0(VALU_DEP_1)
	v_cmp_ge_i32_e32 vcc_lo, s11, v20
                                        ; implicit-def: $vgpr20_vgpr21
	s_and_saveexec_b32 s44, vcc_lo
; %bb.23:                               ;   in Loop: Header=BB1_18 Depth=2
	v_sub_nc_u32_e32 v20, v8, v2
	v_mov_b64_e32 v[22:23], v[8:9]
	s_or_b32 s45, s34, exec_lo
	s_delay_alu instid0(VALU_DEP_2) | instskip(NEXT) | instid1(VALU_DEP_1)
	v_ashrrev_i32_e32 v21, 31, v20
	v_lshl_add_u64 v[20:21], v[20:21], 2, v[16:17]
; %bb.24:                               ;   in Loop: Header=BB1_18 Depth=2
	s_or_b32 exec_lo, exec_lo, s44
	s_delay_alu instid0(SALU_CYCLE_1) | instskip(SKIP_1) | instid1(SALU_CYCLE_1)
	s_and_not1_b32 s34, s34, exec_lo
	s_and_b32 s44, s45, exec_lo
	s_or_b32 s34, s34, s44
.LBB1_25:                               ;   in Loop: Header=BB1_18 Depth=2
	s_or_b32 exec_lo, exec_lo, s35
	s_and_saveexec_b32 s35, s34
	s_cbranch_execz .LBB1_16
; %bb.26:                               ;   in Loop: Header=BB1_18 Depth=2
	s_delay_alu instid0(VALU_DEP_1) | instskip(NEXT) | instid1(VALU_DEP_1)
	v_mul_u64_e32 v[22:23], s[36:37], v[22:23]
	v_lshl_add_u64 v[22:23], v[22:23], 2, s[24:25]
	global_load_b32 v27, v[20:21], off
	global_load_b32 v28, v[22:23], off
	s_wait_loadcnt 0x0
	v_fmac_f32_e32 v25, v27, v28
	s_branch .LBB1_16
.LBB1_27:                               ;   in Loop: Header=BB1_5 Depth=1
	s_or_b32 exec_lo, exec_lo, s31
.LBB1_28:                               ;   in Loop: Header=BB1_5 Depth=1
	s_delay_alu instid0(SALU_CYCLE_1)
	s_or_b32 exec_lo, exec_lo, s30
	ds_store_b32 v3, v25
	s_wait_dscnt 0x0
	s_barrier_signal -1
	s_barrier_wait -1
                                        ; implicit-def: $vgpr8
	s_and_saveexec_b32 s24, s27
	s_cbranch_execz .LBB1_32
; %bb.29:                               ;   in Loop: Header=BB1_5 Depth=1
	ds_load_2addr_stride64_b32 v[14:15], v3 offset1:1
	ds_load_2addr_stride64_b32 v[16:17], v3 offset0:2 offset1:3
	ds_load_2addr_stride64_b32 v[18:19], v3 offset0:4 offset1:5
	;; [unrolled: 1-line block ×3, first 2 shown]
	s_cmp_eq_f32 s28, 0
	s_wait_dscnt 0x3
	v_add_f32_e32 v8, v14, v15
	ds_load_2addr_stride64_b32 v[14:15], v3 offset0:8 offset1:9
	s_wait_dscnt 0x3
	v_add_f32_e32 v8, v16, v8
	s_delay_alu instid0(VALU_DEP_1) | instskip(SKIP_3) | instid1(VALU_DEP_1)
	v_add_f32_e32 v8, v17, v8
	ds_load_2addr_stride64_b32 v[16:17], v3 offset0:10 offset1:11
	s_wait_dscnt 0x3
	v_add_f32_e32 v8, v18, v8
	v_add_f32_e32 v8, v19, v8
	s_wait_dscnt 0x2
	s_delay_alu instid0(VALU_DEP_1) | instskip(NEXT) | instid1(VALU_DEP_1)
	v_add_f32_e32 v8, v20, v8
	v_add_f32_e32 v8, v21, v8
	ds_load_2addr_stride64_b32 v[18:19], v3 offset0:12 offset1:13
	ds_load_2addr_stride64_b32 v[20:21], v3 offset0:14 offset1:15
	s_wait_dscnt 0x3
	v_add_f32_e32 v8, v14, v8
	s_delay_alu instid0(VALU_DEP_1) | instskip(SKIP_1) | instid1(VALU_DEP_1)
	v_add_f32_e32 v8, v15, v8
	s_wait_dscnt 0x2
	v_add_f32_e32 v8, v16, v8
	s_delay_alu instid0(VALU_DEP_1) | instskip(SKIP_1) | instid1(VALU_DEP_1)
	v_add_f32_e32 v8, v17, v8
	;; [unrolled: 4-line block ×3, first 2 shown]
	s_wait_dscnt 0x0
	v_add_f32_e32 v8, v20, v8
	s_delay_alu instid0(VALU_DEP_1) | instskip(NEXT) | instid1(VALU_DEP_1)
	v_add_f32_e32 v14, v21, v8
	v_mul_f32_e32 v8, v24, v14
	ds_store_b32 v3, v14
	s_cbranch_scc1 .LBB1_31
; %bb.30:                               ;   in Loop: Header=BB1_5 Depth=1
	v_lshl_add_u64 v[14:15], v[4:5], 2, s[2:3]
	global_load_b32 v14, v[14:15], off
	s_wait_loadcnt 0x0
	v_fmac_f32_e32 v8, s28, v14
.LBB1_31:                               ;   in Loop: Header=BB1_5 Depth=1
	s_or_b32 s29, s29, exec_lo
.LBB1_32:                               ;   in Loop: Header=BB1_5 Depth=1
	s_wait_xcnt 0x0
	s_or_b32 exec_lo, exec_lo, s24
.LBB1_33:                               ;   in Loop: Header=BB1_5 Depth=1
	s_and_saveexec_b32 s24, s29
	s_cbranch_execz .LBB1_3
; %bb.34:                               ;   in Loop: Header=BB1_5 Depth=1
	v_lshl_add_u64 v[14:15], v[4:5], 2, s[2:3]
	global_store_b32 v[14:15], v8, off
	s_branch .LBB1_3
.LBB1_35:
	s_endpgm
	.section	.rodata,"a",@progbits
	.p2align	6, 0x0
	.amdhsa_kernel _ZL19rocblas_sbmv_kernelILb0ELi64ELi16EPKfS1_PfEviiT2_lT3_lllS4_lllS3_lT4_llli
		.amdhsa_group_segment_fixed_size 4096
		.amdhsa_private_segment_fixed_size 0
		.amdhsa_kernarg_size 400
		.amdhsa_user_sgpr_count 2
		.amdhsa_user_sgpr_dispatch_ptr 0
		.amdhsa_user_sgpr_queue_ptr 0
		.amdhsa_user_sgpr_kernarg_segment_ptr 1
		.amdhsa_user_sgpr_dispatch_id 0
		.amdhsa_user_sgpr_kernarg_preload_length 0
		.amdhsa_user_sgpr_kernarg_preload_offset 0
		.amdhsa_user_sgpr_private_segment_size 0
		.amdhsa_wavefront_size32 1
		.amdhsa_uses_dynamic_stack 0
		.amdhsa_enable_private_segment 0
		.amdhsa_system_sgpr_workgroup_id_x 1
		.amdhsa_system_sgpr_workgroup_id_y 0
		.amdhsa_system_sgpr_workgroup_id_z 1
		.amdhsa_system_sgpr_workgroup_info 0
		.amdhsa_system_vgpr_workitem_id 1
		.amdhsa_next_free_vgpr 29
		.amdhsa_next_free_sgpr 52
		.amdhsa_named_barrier_count 0
		.amdhsa_reserve_vcc 1
		.amdhsa_float_round_mode_32 0
		.amdhsa_float_round_mode_16_64 0
		.amdhsa_float_denorm_mode_32 3
		.amdhsa_float_denorm_mode_16_64 3
		.amdhsa_fp16_overflow 0
		.amdhsa_memory_ordered 1
		.amdhsa_forward_progress 1
		.amdhsa_inst_pref_size 11
		.amdhsa_round_robin_scheduling 0
		.amdhsa_exception_fp_ieee_invalid_op 0
		.amdhsa_exception_fp_denorm_src 0
		.amdhsa_exception_fp_ieee_div_zero 0
		.amdhsa_exception_fp_ieee_overflow 0
		.amdhsa_exception_fp_ieee_underflow 0
		.amdhsa_exception_fp_ieee_inexact 0
		.amdhsa_exception_int_div_zero 0
	.end_amdhsa_kernel
	.section	.text._ZL19rocblas_sbmv_kernelILb0ELi64ELi16EPKfS1_PfEviiT2_lT3_lllS4_lllS3_lT4_llli,"axG",@progbits,_ZL19rocblas_sbmv_kernelILb0ELi64ELi16EPKfS1_PfEviiT2_lT3_lllS4_lllS3_lT4_llli,comdat
.Lfunc_end1:
	.size	_ZL19rocblas_sbmv_kernelILb0ELi64ELi16EPKfS1_PfEviiT2_lT3_lllS4_lllS3_lT4_llli, .Lfunc_end1-_ZL19rocblas_sbmv_kernelILb0ELi64ELi16EPKfS1_PfEviiT2_lT3_lllS4_lllS3_lT4_llli
                                        ; -- End function
	.set _ZL19rocblas_sbmv_kernelILb0ELi64ELi16EPKfS1_PfEviiT2_lT3_lllS4_lllS3_lT4_llli.num_vgpr, 29
	.set _ZL19rocblas_sbmv_kernelILb0ELi64ELi16EPKfS1_PfEviiT2_lT3_lllS4_lllS3_lT4_llli.num_agpr, 0
	.set _ZL19rocblas_sbmv_kernelILb0ELi64ELi16EPKfS1_PfEviiT2_lT3_lllS4_lllS3_lT4_llli.numbered_sgpr, 52
	.set _ZL19rocblas_sbmv_kernelILb0ELi64ELi16EPKfS1_PfEviiT2_lT3_lllS4_lllS3_lT4_llli.num_named_barrier, 0
	.set _ZL19rocblas_sbmv_kernelILb0ELi64ELi16EPKfS1_PfEviiT2_lT3_lllS4_lllS3_lT4_llli.private_seg_size, 0
	.set _ZL19rocblas_sbmv_kernelILb0ELi64ELi16EPKfS1_PfEviiT2_lT3_lllS4_lllS3_lT4_llli.uses_vcc, 1
	.set _ZL19rocblas_sbmv_kernelILb0ELi64ELi16EPKfS1_PfEviiT2_lT3_lllS4_lllS3_lT4_llli.uses_flat_scratch, 0
	.set _ZL19rocblas_sbmv_kernelILb0ELi64ELi16EPKfS1_PfEviiT2_lT3_lllS4_lllS3_lT4_llli.has_dyn_sized_stack, 0
	.set _ZL19rocblas_sbmv_kernelILb0ELi64ELi16EPKfS1_PfEviiT2_lT3_lllS4_lllS3_lT4_llli.has_recursion, 0
	.set _ZL19rocblas_sbmv_kernelILb0ELi64ELi16EPKfS1_PfEviiT2_lT3_lllS4_lllS3_lT4_llli.has_indirect_call, 0
	.section	.AMDGPU.csdata,"",@progbits
; Kernel info:
; codeLenInByte = 1340
; TotalNumSgprs: 54
; NumVgprs: 29
; ScratchSize: 0
; MemoryBound: 0
; FloatMode: 240
; IeeeMode: 1
; LDSByteSize: 4096 bytes/workgroup (compile time only)
; SGPRBlocks: 0
; VGPRBlocks: 1
; NumSGPRsForWavesPerEU: 54
; NumVGPRsForWavesPerEU: 29
; NamedBarCnt: 0
; Occupancy: 16
; WaveLimiterHint : 1
; COMPUTE_PGM_RSRC2:SCRATCH_EN: 0
; COMPUTE_PGM_RSRC2:USER_SGPR: 2
; COMPUTE_PGM_RSRC2:TRAP_HANDLER: 0
; COMPUTE_PGM_RSRC2:TGID_X_EN: 1
; COMPUTE_PGM_RSRC2:TGID_Y_EN: 0
; COMPUTE_PGM_RSRC2:TGID_Z_EN: 1
; COMPUTE_PGM_RSRC2:TIDIG_COMP_CNT: 1
	.section	.text._ZL19rocblas_sbmv_kernelILb1ELi64ELi16EfPKfPfEviiT2_lT3_lllS4_lllS3_lT4_llli,"axG",@progbits,_ZL19rocblas_sbmv_kernelILb1ELi64ELi16EfPKfPfEviiT2_lT3_lllS4_lllS3_lT4_llli,comdat
	.globl	_ZL19rocblas_sbmv_kernelILb1ELi64ELi16EfPKfPfEviiT2_lT3_lllS4_lllS3_lT4_llli ; -- Begin function _ZL19rocblas_sbmv_kernelILb1ELi64ELi16EfPKfPfEviiT2_lT3_lllS4_lllS3_lT4_llli
	.p2align	8
	.type	_ZL19rocblas_sbmv_kernelILb1ELi64ELi16EfPKfPfEviiT2_lT3_lllS4_lllS3_lT4_llli,@function
_ZL19rocblas_sbmv_kernelILb1ELi64ELi16EfPKfPfEviiT2_lT3_lllS4_lllS3_lT4_llli: ; @_ZL19rocblas_sbmv_kernelILb1ELi64ELi16EfPKfPfEviiT2_lT3_lllS4_lllS3_lT4_llli
; %bb.0:
	s_load_b64 s[2:3], s[0:1], 0x9c
	s_wait_kmcnt 0x0
	s_lshr_b32 s4, s2, 16
	s_and_b32 s35, s2, 0xffff
	s_and_b32 s2, s3, 0xffff
	s_mul_i32 s3, s4, s35
	s_delay_alu instid0(SALU_CYCLE_1) | instskip(NEXT) | instid1(SALU_CYCLE_1)
	s_mul_i32 s3, s3, s2
	s_cmp_lg_u32 s3, 0x400
	s_cbranch_scc1 .LBB2_35
; %bb.1:
	s_load_b32 s31, s[0:1], 0x88
	s_bfe_u32 s2, ttmp6, 0x40014
	s_lshr_b32 s3, ttmp7, 16
	s_add_co_i32 s2, s2, 1
	s_bfe_u32 s4, ttmp6, 0x40008
	s_mul_i32 s2, s3, s2
	s_getreg_b32 s36, hwreg(HW_REG_IB_STS2, 6, 4)
	s_add_co_i32 s4, s4, s2
	s_cmp_eq_u32 s36, 0
	s_cselect_b32 s2, s3, s4
	s_mov_b32 s3, 0
	s_wait_kmcnt 0x0
	s_cmp_ge_u32 s2, s31
	s_cbranch_scc1 .LBB2_35
; %bb.2:
	s_clause 0x3
	s_load_b512 s[4:19], s[0:1], 0x18
	s_load_b256 s[20:27], s[0:1], 0x68
	s_load_b96 s[28:30], s[0:1], 0x0
	s_load_b32 s33, s[0:1], 0x58
	v_and_b32_e32 v2, 0x3ff, v0
	v_bfe_u32 v0, v0, 10, 10
	s_delay_alu instid0(VALU_DEP_1) | instskip(NEXT) | instid1(VALU_DEP_1)
	v_mad_u32_u24 v0, v0, s35, v2
	v_dual_mov_b32 v1, 0 :: v_dual_lshrrev_b32 v2, 6, v0
	s_delay_alu instid0(VALU_DEP_1)
	v_dual_mov_b32 v3, v1 :: v_dual_bitop2_b32 v14, 63, v0 bitop3:0x40
	v_cmp_gt_u32_e32 vcc_lo, 64, v0
	s_wait_kmcnt 0x0
	s_lshl_b64 s[6:7], s[6:7], 2
	s_lshl_b64 s[14:15], s[14:15], 2
	;; [unrolled: 1-line block ×3, first 2 shown]
	s_cmp_eq_f32 s30, 0
	v_mul_u64_e32 v[10:11], s[8:9], v[2:3]
	s_add_nc_u64 s[4:5], s[4:5], s[6:7]
	s_add_nc_u64 s[6:7], s[12:13], s[14:15]
	s_cselect_b32 s34, -1, 0
	s_cmp_neq_f32 s30, 0
	s_add_nc_u64 s[12:13], s[20:21], s[22:23]
	s_cselect_b32 s0, -1, 0
	s_cmp_neq_f32 s33, 1.0
	s_cselect_b32 s1, -1, 0
	s_bfe_u32 s35, ttmp6, 0x4000c
	s_and_b32 s37, ttmp6, 15
	s_add_co_i32 s35, s35, 1
	s_delay_alu instid0(SALU_CYCLE_1) | instskip(SKIP_4) | instid1(SALU_CYCLE_1)
	s_mul_i32 s38, ttmp9, s35
	s_or_b32 s35, s0, s1
	s_add_co_i32 s37, s37, s38
	s_cmp_eq_u32 s36, 0
	s_cselect_b32 s0, ttmp9, s37
	s_lshl_b32 s36, s0, 6
	s_delay_alu instid0(SALU_CYCLE_1) | instskip(NEXT) | instid1(VALU_DEP_1)
	v_dual_add_nc_u32 v12, s36, v0 :: v_dual_bitop2_b32 v4, s36, v14 bitop3:0x54
	v_ashrrev_i32_e32 v13, 31, v12
	v_cmp_gt_i32_e64 s0, s28, v12
	s_delay_alu instid0(VALU_DEP_3) | instskip(SKIP_1) | instid1(VALU_DEP_4)
	v_cmp_gt_i32_e64 s1, s28, v4
	v_lshl_add_u64 v[10:11], v[10:11], 2, s[4:5]
	v_mul_u64_e32 v[6:7], s[24:25], v[12:13]
	v_add3_u32 v12, s29, s36, v14
	v_dual_ashrrev_i32 v5, 31, v4 :: v_dual_sub_nc_u32 v14, s29, v14
	s_and_b32 s24, vcc_lo, s0
	s_cmp_neq_f32 s33, 0
	s_delay_alu instid0(VALU_DEP_2) | instskip(NEXT) | instid1(VALU_DEP_2)
	v_sub_nc_u32_e32 v13, v12, v2
	v_mul_u64_e32 v[8:9], s[8:9], v[4:5]
	v_cmp_gt_i32_e64 s0, s28, v2
	v_lshlrev_b32_e32 v5, 2, v0
	v_subrev_nc_u32_e32 v12, s36, v14
	s_cselect_b32 s25, -1, 0
	s_lshl_b64 s[14:15], s[10:11], 2
	s_lshl_b64 s[8:9], s[8:9], 6
	s_branch .LBB2_5
.LBB2_3:                                ;   in Loop: Header=BB2_5 Depth=1
	s_wait_xcnt 0x0
	s_or_b32 exec_lo, exec_lo, s22
.LBB2_4:                                ;   in Loop: Header=BB2_5 Depth=1
	s_add_co_i32 s2, s2, 0x10000
	s_delay_alu instid0(SALU_CYCLE_1)
	s_cmp_lt_u32 s2, s31
	s_cbranch_scc0 .LBB2_35
.LBB2_5:                                ; =>This Loop Header: Depth=1
                                        ;     Child Loop BB2_18 Depth 2
	s_and_not1_b32 vcc_lo, exec_lo, s35
	s_cbranch_vccnz .LBB2_4
; %bb.6:                                ;   in Loop: Header=BB2_5 Depth=1
	s_mul_u64 s[20:21], s[26:27], s[2:3]
	s_and_not1_b32 vcc_lo, exec_lo, s34
	s_lshl_b64 s[20:21], s[20:21], 2
	s_delay_alu instid0(SALU_CYCLE_1)
	s_add_nc_u64 s[20:21], s[12:13], s[20:21]
	s_cbranch_vccnz .LBB2_10
; %bb.7:                                ;   in Loop: Header=BB2_5 Depth=1
	s_mov_b32 s22, 0
	s_mov_b32 s29, 0
                                        ; implicit-def: $vgpr0
	s_and_saveexec_b32 s23, s24
	s_cbranch_execz .LBB2_11
; %bb.8:                                ;   in Loop: Header=BB2_5 Depth=1
	s_and_not1_b32 vcc_lo, exec_lo, s25
	s_cbranch_vccnz .LBB2_12
; %bb.9:                                ;   in Loop: Header=BB2_5 Depth=1
	v_lshl_add_u64 v[14:15], v[6:7], 2, s[20:21]
	global_load_b32 v0, v[14:15], off
	s_wait_loadcnt 0x0
	v_mul_f32_e32 v0, s33, v0
	s_branch .LBB2_13
.LBB2_10:                               ;   in Loop: Header=BB2_5 Depth=1
	s_mov_b32 s29, 0
                                        ; implicit-def: $vgpr0
	s_cbranch_execnz .LBB2_14
	s_branch .LBB2_33
.LBB2_11:                               ;   in Loop: Header=BB2_5 Depth=1
	s_or_b32 exec_lo, exec_lo, s23
	s_delay_alu instid0(SALU_CYCLE_1)
	s_and_b32 vcc_lo, exec_lo, s22
	s_cbranch_vccnz .LBB2_14
	s_branch .LBB2_33
.LBB2_12:                               ;   in Loop: Header=BB2_5 Depth=1
	v_mov_b32_e32 v0, 0
.LBB2_13:                               ;   in Loop: Header=BB2_5 Depth=1
	s_mov_b32 s29, exec_lo
	s_wait_xcnt 0x0
	s_or_b32 exec_lo, exec_lo, s23
	s_delay_alu instid0(SALU_CYCLE_1)
	s_and_b32 vcc_lo, exec_lo, s22
	s_cbranch_vccz .LBB2_33
.LBB2_14:                               ;   in Loop: Header=BB2_5 Depth=1
	v_mov_b32_e32 v28, 0
	s_and_saveexec_b32 s36, s0
	s_cbranch_execz .LBB2_28
; %bb.15:                               ;   in Loop: Header=BB2_5 Depth=1
	v_mad_nc_u64_u32 v[14:15], s14, s2, v[10:11]
	s_mul_u64 s[22:23], s[10:11], s[2:3]
	v_mov_b64_e32 v[18:19], v[2:3]
	s_lshl_b64 s[22:23], s[22:23], 2
	s_mul_u64 s[38:39], s[18:19], s[2:3]
	s_add_nc_u64 s[22:23], s[4:5], s[22:23]
	v_dual_mov_b32 v28, 0 :: v_dual_mov_b32 v0, v13
	v_lshl_add_u64 v[16:17], v[8:9], 2, s[22:23]
	v_mov_b32_e32 v20, v2
	s_lshl_b64 s[38:39], s[38:39], 2
	v_mad_u32 v15, s15, s2, v15
	s_add_nc_u64 s[22:23], s[6:7], s[38:39]
	s_mov_b32 s37, 0
	s_branch .LBB2_18
.LBB2_16:                               ;   in Loop: Header=BB2_18 Depth=2
	s_wait_xcnt 0x0
	s_or_b32 exec_lo, exec_lo, s40
.LBB2_17:                               ;   in Loop: Header=BB2_18 Depth=2
	s_delay_alu instid0(SALU_CYCLE_1) | instskip(SKIP_1) | instid1(VALU_DEP_2)
	s_or_b32 exec_lo, exec_lo, s38
	v_add_nc_u64_e32 v[18:19], 16, v[18:19]
	v_add_nc_u64_e32 v[14:15], s[8:9], v[14:15]
	v_add_nc_u32_e32 v20, 16, v20
	v_add_nc_u32_e32 v0, -16, v0
	s_delay_alu instid0(VALU_DEP_4) | instskip(SKIP_1) | instid1(SALU_CYCLE_1)
	v_cmp_le_i32_e32 vcc_lo, s28, v18
	s_or_b32 s37, vcc_lo, s37
	s_and_not1_b32 exec_lo, exec_lo, s37
	s_cbranch_execz .LBB2_27
.LBB2_18:                               ;   Parent Loop BB2_5 Depth=1
                                        ; =>  This Inner Loop Header: Depth=2
	s_and_saveexec_b32 s38, s1
	s_cbranch_execz .LBB2_17
; %bb.19:                               ;   in Loop: Header=BB2_18 Depth=2
	s_mov_b32 s39, 0
	s_mov_b32 s40, exec_lo
                                        ; implicit-def: $vgpr22_vgpr23
	v_cmpx_le_i32_e64 v4, v18
	s_xor_b32 s40, exec_lo, s40
	s_cbranch_execnz .LBB2_22
; %bb.20:                               ;   in Loop: Header=BB2_18 Depth=2
	s_or_saveexec_b32 s40, s40
	v_mov_b64_e32 v[24:25], v[18:19]
	s_xor_b32 exec_lo, exec_lo, s40
	s_cbranch_execnz .LBB2_23
.LBB2_21:                               ;   in Loop: Header=BB2_18 Depth=2
	s_or_b32 exec_lo, exec_lo, s40
	s_and_saveexec_b32 s40, s39
	s_cbranch_execz .LBB2_16
	s_branch .LBB2_26
.LBB2_22:                               ;   in Loop: Header=BB2_18 Depth=2
	v_cmp_lt_i32_e32 vcc_lo, -1, v0
	v_lshl_add_u64 v[22:23], v[0:1], 2, v[14:15]
	s_and_b32 s39, vcc_lo, exec_lo
	s_or_saveexec_b32 s40, s40
	v_mov_b64_e32 v[24:25], v[18:19]
	s_xor_b32 exec_lo, exec_lo, s40
	s_cbranch_execz .LBB2_21
.LBB2_23:                               ;   in Loop: Header=BB2_18 Depth=2
	v_add_nc_u32_e32 v26, v12, v18
	s_mov_b32 s42, s39
	s_mov_b32 s41, exec_lo
                                        ; implicit-def: $vgpr22_vgpr23
                                        ; implicit-def: $vgpr24_vgpr25
	s_delay_alu instid0(VALU_DEP_1)
	v_cmpx_lt_i32_e32 -1, v26
; %bb.24:                               ;   in Loop: Header=BB2_18 Depth=2
	v_dual_mov_b32 v27, v1 :: v_dual_mov_b32 v21, v1
	s_or_b32 s42, s39, exec_lo
	s_delay_alu instid0(VALU_DEP_1) | instskip(NEXT) | instid1(VALU_DEP_2)
	v_lshl_add_u64 v[22:23], v[26:27], 2, v[16:17]
	v_mov_b64_e32 v[24:25], v[20:21]
; %bb.25:                               ;   in Loop: Header=BB2_18 Depth=2
	s_or_b32 exec_lo, exec_lo, s41
	s_delay_alu instid0(SALU_CYCLE_1) | instskip(SKIP_1) | instid1(SALU_CYCLE_1)
	s_and_not1_b32 s39, s39, exec_lo
	s_and_b32 s41, s42, exec_lo
	s_or_b32 s39, s39, s41
	s_or_b32 exec_lo, exec_lo, s40
	s_and_saveexec_b32 s40, s39
	s_cbranch_execz .LBB2_16
.LBB2_26:                               ;   in Loop: Header=BB2_18 Depth=2
	v_mul_u64_e32 v[24:25], s[16:17], v[24:25]
	s_delay_alu instid0(VALU_DEP_1)
	v_lshl_add_u64 v[24:25], v[24:25], 2, s[22:23]
	global_load_b32 v21, v[22:23], off
	global_load_b32 v26, v[24:25], off
	s_wait_loadcnt 0x0
	v_fmac_f32_e32 v28, v21, v26
	s_branch .LBB2_16
.LBB2_27:                               ;   in Loop: Header=BB2_5 Depth=1
	s_or_b32 exec_lo, exec_lo, s37
.LBB2_28:                               ;   in Loop: Header=BB2_5 Depth=1
	s_delay_alu instid0(SALU_CYCLE_1)
	s_or_b32 exec_lo, exec_lo, s36
	ds_store_b32 v5, v28
	s_wait_dscnt 0x0
	s_barrier_signal -1
	s_barrier_wait -1
                                        ; implicit-def: $vgpr0
	s_and_saveexec_b32 s22, s24
	s_cbranch_execz .LBB2_32
; %bb.29:                               ;   in Loop: Header=BB2_5 Depth=1
	ds_load_2addr_stride64_b32 v[14:15], v5 offset1:1
	ds_load_2addr_stride64_b32 v[16:17], v5 offset0:2 offset1:3
	ds_load_2addr_stride64_b32 v[18:19], v5 offset0:4 offset1:5
	;; [unrolled: 1-line block ×3, first 2 shown]
	s_and_not1_b32 vcc_lo, exec_lo, s25
	s_wait_dscnt 0x3
	v_add_f32_e32 v0, v14, v15
	ds_load_2addr_stride64_b32 v[14:15], v5 offset0:8 offset1:9
	s_wait_dscnt 0x3
	v_add_f32_e32 v0, v16, v0
	s_delay_alu instid0(VALU_DEP_1) | instskip(SKIP_3) | instid1(VALU_DEP_1)
	v_add_f32_e32 v0, v17, v0
	ds_load_2addr_stride64_b32 v[16:17], v5 offset0:10 offset1:11
	s_wait_dscnt 0x3
	v_add_f32_e32 v0, v18, v0
	v_add_f32_e32 v0, v19, v0
	s_wait_dscnt 0x2
	s_delay_alu instid0(VALU_DEP_1) | instskip(NEXT) | instid1(VALU_DEP_1)
	v_add_f32_e32 v0, v20, v0
	v_add_f32_e32 v0, v21, v0
	ds_load_2addr_stride64_b32 v[18:19], v5 offset0:12 offset1:13
	ds_load_2addr_stride64_b32 v[20:21], v5 offset0:14 offset1:15
	s_wait_dscnt 0x3
	v_add_f32_e32 v0, v14, v0
	s_delay_alu instid0(VALU_DEP_1) | instskip(SKIP_1) | instid1(VALU_DEP_1)
	v_add_f32_e32 v0, v15, v0
	s_wait_dscnt 0x2
	v_add_f32_e32 v0, v16, v0
	s_delay_alu instid0(VALU_DEP_1) | instskip(SKIP_1) | instid1(VALU_DEP_1)
	v_add_f32_e32 v0, v17, v0
	;; [unrolled: 4-line block ×3, first 2 shown]
	s_wait_dscnt 0x0
	v_add_f32_e32 v0, v20, v0
	s_delay_alu instid0(VALU_DEP_1) | instskip(NEXT) | instid1(VALU_DEP_1)
	v_add_f32_e32 v14, v21, v0
	v_mul_f32_e32 v0, s30, v14
	ds_store_b32 v5, v14
	s_cbranch_vccnz .LBB2_31
; %bb.30:                               ;   in Loop: Header=BB2_5 Depth=1
	v_lshl_add_u64 v[14:15], v[6:7], 2, s[20:21]
	global_load_b32 v14, v[14:15], off
	s_wait_loadcnt 0x0
	v_fmac_f32_e32 v0, s33, v14
.LBB2_31:                               ;   in Loop: Header=BB2_5 Depth=1
	s_or_b32 s29, s29, exec_lo
.LBB2_32:                               ;   in Loop: Header=BB2_5 Depth=1
	s_wait_xcnt 0x0
	s_or_b32 exec_lo, exec_lo, s22
.LBB2_33:                               ;   in Loop: Header=BB2_5 Depth=1
	s_and_saveexec_b32 s22, s29
	s_cbranch_execz .LBB2_3
; %bb.34:                               ;   in Loop: Header=BB2_5 Depth=1
	v_lshl_add_u64 v[14:15], v[6:7], 2, s[20:21]
	global_store_b32 v[14:15], v0, off
	s_branch .LBB2_3
.LBB2_35:
	s_endpgm
	.section	.rodata,"a",@progbits
	.p2align	6, 0x0
	.amdhsa_kernel _ZL19rocblas_sbmv_kernelILb1ELi64ELi16EfPKfPfEviiT2_lT3_lllS4_lllS3_lT4_llli
		.amdhsa_group_segment_fixed_size 4096
		.amdhsa_private_segment_fixed_size 0
		.amdhsa_kernarg_size 400
		.amdhsa_user_sgpr_count 2
		.amdhsa_user_sgpr_dispatch_ptr 0
		.amdhsa_user_sgpr_queue_ptr 0
		.amdhsa_user_sgpr_kernarg_segment_ptr 1
		.amdhsa_user_sgpr_dispatch_id 0
		.amdhsa_user_sgpr_kernarg_preload_length 0
		.amdhsa_user_sgpr_kernarg_preload_offset 0
		.amdhsa_user_sgpr_private_segment_size 0
		.amdhsa_wavefront_size32 1
		.amdhsa_uses_dynamic_stack 0
		.amdhsa_enable_private_segment 0
		.amdhsa_system_sgpr_workgroup_id_x 1
		.amdhsa_system_sgpr_workgroup_id_y 0
		.amdhsa_system_sgpr_workgroup_id_z 1
		.amdhsa_system_sgpr_workgroup_info 0
		.amdhsa_system_vgpr_workitem_id 1
		.amdhsa_next_free_vgpr 29
		.amdhsa_next_free_sgpr 43
		.amdhsa_named_barrier_count 0
		.amdhsa_reserve_vcc 1
		.amdhsa_float_round_mode_32 0
		.amdhsa_float_round_mode_16_64 0
		.amdhsa_float_denorm_mode_32 3
		.amdhsa_float_denorm_mode_16_64 3
		.amdhsa_fp16_overflow 0
		.amdhsa_memory_ordered 1
		.amdhsa_forward_progress 1
		.amdhsa_inst_pref_size 11
		.amdhsa_round_robin_scheduling 0
		.amdhsa_exception_fp_ieee_invalid_op 0
		.amdhsa_exception_fp_denorm_src 0
		.amdhsa_exception_fp_ieee_div_zero 0
		.amdhsa_exception_fp_ieee_overflow 0
		.amdhsa_exception_fp_ieee_underflow 0
		.amdhsa_exception_fp_ieee_inexact 0
		.amdhsa_exception_int_div_zero 0
	.end_amdhsa_kernel
	.section	.text._ZL19rocblas_sbmv_kernelILb1ELi64ELi16EfPKfPfEviiT2_lT3_lllS4_lllS3_lT4_llli,"axG",@progbits,_ZL19rocblas_sbmv_kernelILb1ELi64ELi16EfPKfPfEviiT2_lT3_lllS4_lllS3_lT4_llli,comdat
.Lfunc_end2:
	.size	_ZL19rocblas_sbmv_kernelILb1ELi64ELi16EfPKfPfEviiT2_lT3_lllS4_lllS3_lT4_llli, .Lfunc_end2-_ZL19rocblas_sbmv_kernelILb1ELi64ELi16EfPKfPfEviiT2_lT3_lllS4_lllS3_lT4_llli
                                        ; -- End function
	.set _ZL19rocblas_sbmv_kernelILb1ELi64ELi16EfPKfPfEviiT2_lT3_lllS4_lllS3_lT4_llli.num_vgpr, 29
	.set _ZL19rocblas_sbmv_kernelILb1ELi64ELi16EfPKfPfEviiT2_lT3_lllS4_lllS3_lT4_llli.num_agpr, 0
	.set _ZL19rocblas_sbmv_kernelILb1ELi64ELi16EfPKfPfEviiT2_lT3_lllS4_lllS3_lT4_llli.numbered_sgpr, 43
	.set _ZL19rocblas_sbmv_kernelILb1ELi64ELi16EfPKfPfEviiT2_lT3_lllS4_lllS3_lT4_llli.num_named_barrier, 0
	.set _ZL19rocblas_sbmv_kernelILb1ELi64ELi16EfPKfPfEviiT2_lT3_lllS4_lllS3_lT4_llli.private_seg_size, 0
	.set _ZL19rocblas_sbmv_kernelILb1ELi64ELi16EfPKfPfEviiT2_lT3_lllS4_lllS3_lT4_llli.uses_vcc, 1
	.set _ZL19rocblas_sbmv_kernelILb1ELi64ELi16EfPKfPfEviiT2_lT3_lllS4_lllS3_lT4_llli.uses_flat_scratch, 0
	.set _ZL19rocblas_sbmv_kernelILb1ELi64ELi16EfPKfPfEviiT2_lT3_lllS4_lllS3_lT4_llli.has_dyn_sized_stack, 0
	.set _ZL19rocblas_sbmv_kernelILb1ELi64ELi16EfPKfPfEviiT2_lT3_lllS4_lllS3_lT4_llli.has_recursion, 0
	.set _ZL19rocblas_sbmv_kernelILb1ELi64ELi16EfPKfPfEviiT2_lT3_lllS4_lllS3_lT4_llli.has_indirect_call, 0
	.section	.AMDGPU.csdata,"",@progbits
; Kernel info:
; codeLenInByte = 1304
; TotalNumSgprs: 45
; NumVgprs: 29
; ScratchSize: 0
; MemoryBound: 0
; FloatMode: 240
; IeeeMode: 1
; LDSByteSize: 4096 bytes/workgroup (compile time only)
; SGPRBlocks: 0
; VGPRBlocks: 1
; NumSGPRsForWavesPerEU: 45
; NumVGPRsForWavesPerEU: 29
; NamedBarCnt: 0
; Occupancy: 16
; WaveLimiterHint : 1
; COMPUTE_PGM_RSRC2:SCRATCH_EN: 0
; COMPUTE_PGM_RSRC2:USER_SGPR: 2
; COMPUTE_PGM_RSRC2:TRAP_HANDLER: 0
; COMPUTE_PGM_RSRC2:TGID_X_EN: 1
; COMPUTE_PGM_RSRC2:TGID_Y_EN: 0
; COMPUTE_PGM_RSRC2:TGID_Z_EN: 1
; COMPUTE_PGM_RSRC2:TIDIG_COMP_CNT: 1
	.section	.text._ZL19rocblas_sbmv_kernelILb0ELi64ELi16EfPKfPfEviiT2_lT3_lllS4_lllS3_lT4_llli,"axG",@progbits,_ZL19rocblas_sbmv_kernelILb0ELi64ELi16EfPKfPfEviiT2_lT3_lllS4_lllS3_lT4_llli,comdat
	.globl	_ZL19rocblas_sbmv_kernelILb0ELi64ELi16EfPKfPfEviiT2_lT3_lllS4_lllS3_lT4_llli ; -- Begin function _ZL19rocblas_sbmv_kernelILb0ELi64ELi16EfPKfPfEviiT2_lT3_lllS4_lllS3_lT4_llli
	.p2align	8
	.type	_ZL19rocblas_sbmv_kernelILb0ELi64ELi16EfPKfPfEviiT2_lT3_lllS4_lllS3_lT4_llli,@function
_ZL19rocblas_sbmv_kernelILb0ELi64ELi16EfPKfPfEviiT2_lT3_lllS4_lllS3_lT4_llli: ; @_ZL19rocblas_sbmv_kernelILb0ELi64ELi16EfPKfPfEviiT2_lT3_lllS4_lllS3_lT4_llli
; %bb.0:
	s_load_b64 s[2:3], s[0:1], 0x9c
	s_wait_kmcnt 0x0
	s_lshr_b32 s4, s2, 16
	s_and_b32 s36, s2, 0xffff
	s_and_b32 s2, s3, 0xffff
	s_mul_i32 s3, s4, s36
	s_delay_alu instid0(SALU_CYCLE_1) | instskip(NEXT) | instid1(SALU_CYCLE_1)
	s_mul_i32 s3, s3, s2
	s_cmp_lg_u32 s3, 0x400
	s_cbranch_scc1 .LBB3_35
; %bb.1:
	s_load_b32 s31, s[0:1], 0x88
	s_bfe_u32 s2, ttmp6, 0x40014
	s_lshr_b32 s3, ttmp7, 16
	s_add_co_i32 s2, s2, 1
	s_bfe_u32 s4, ttmp6, 0x40008
	s_mul_i32 s2, s3, s2
	s_getreg_b32 s37, hwreg(HW_REG_IB_STS2, 6, 4)
	s_add_co_i32 s4, s4, s2
	s_cmp_eq_u32 s37, 0
	s_cselect_b32 s2, s3, s4
	s_mov_b32 s3, 0
	s_wait_kmcnt 0x0
	s_cmp_ge_u32 s2, s31
	s_cbranch_scc1 .LBB3_35
; %bb.2:
	s_clause 0x3
	s_load_b512 s[4:19], s[0:1], 0x18
	s_load_b256 s[20:27], s[0:1], 0x68
	s_load_b96 s[28:30], s[0:1], 0x0
	s_load_b32 s33, s[0:1], 0x58
	v_and_b32_e32 v1, 0x3ff, v0
	v_bfe_u32 v0, v0, 10, 10
	v_mov_b32_e32 v9, 0
	s_delay_alu instid0(VALU_DEP_2) | instskip(NEXT) | instid1(VALU_DEP_2)
	v_mad_u32_u24 v8, v0, s36, v1
	v_mov_b32_e32 v3, v9
	s_delay_alu instid0(VALU_DEP_2)
	v_cmp_gt_u32_e32 vcc_lo, 64, v8
	v_lshrrev_b32_e32 v2, 6, v8
	s_wait_kmcnt 0x0
	s_lshl_b64 s[6:7], s[6:7], 2
	s_lshl_b64 s[14:15], s[14:15], 2
	;; [unrolled: 1-line block ×3, first 2 shown]
	s_cmp_eq_f32 s30, 0
	s_add_nc_u64 s[12:13], s[12:13], s[14:15]
	s_add_nc_u64 s[14:15], s[20:21], s[22:23]
	s_mov_b64 s[20:21], 0xffffffffffffffc0
	s_cselect_b32 s34, -1, 0
	s_cmp_neq_f32 s30, 0
	s_cselect_b32 s0, -1, 0
	s_cmp_neq_f32 s33, 1.0
	s_cselect_b32 s1, -1, 0
	s_bfe_u32 s35, ttmp6, 0x4000c
	s_and_b32 s38, ttmp6, 15
	s_add_co_i32 s35, s35, 1
	s_delay_alu instid0(SALU_CYCLE_1) | instskip(SKIP_4) | instid1(SALU_CYCLE_1)
	s_mul_i32 s39, ttmp9, s35
	s_or_b32 s35, s0, s1
	s_add_co_i32 s38, s38, s39
	s_cmp_eq_u32 s37, 0
	s_cselect_b32 s0, ttmp9, s38
	s_lshl_b32 s1, s0, 6
	s_delay_alu instid0(SALU_CYCLE_1) | instskip(SKIP_2) | instid1(VALU_DEP_3)
	v_add_nc_u32_e32 v4, s1, v8
	v_and_or_b32 v0, v8, 63, s1
	v_lshlrev_b32_e32 v11, 2, v8
	v_cmp_gt_i32_e64 s0, s28, v4
	v_ashrrev_i32_e32 v5, 31, v4
	s_delay_alu instid0(VALU_DEP_4) | instskip(SKIP_2) | instid1(VALU_DEP_2)
	v_dual_ashrrev_i32 v1, 31, v0 :: v_dual_sub_nc_u32 v10, 0, v0
	s_and_b32 s36, vcc_lo, s0
	s_cmp_neq_f32 s33, 0
	v_mul_u64_e32 v[4:5], s[24:25], v[4:5]
	s_delay_alu instid0(VALU_DEP_2)
	v_mul_u64_e32 v[6:7], s[8:9], v[0:1]
	s_cselect_b32 s37, -1, 0
	s_lshl_b64 s[0:1], s[8:9], 2
	s_lshl_b64 s[8:9], s[8:9], 6
	s_add_nc_u64 s[0:1], s[0:1], -4
	s_add_nc_u64 s[8:9], s[8:9], s[20:21]
	v_mad_nc_u64_u32 v[12:13], v2, s0, s[6:7]
	v_cmp_gt_i32_e64 s0, s28, v2
	s_add_nc_u64 s[6:7], s[4:5], s[6:7]
	v_mad_u32 v13, v2, s1, v13
	v_cmp_gt_i32_e64 s1, s28, v0
	s_delay_alu instid0(VALU_DEP_2) | instskip(SKIP_1) | instid1(VALU_DEP_2)
	v_lshl_add_u64 v[12:13], v[0:1], 2, v[12:13]
	v_sub_nc_u32_e32 v1, v0, v2
	v_add_nc_u64_e32 v[12:13], s[4:5], v[12:13]
	s_lshl_b64 s[4:5], s[10:11], 2
	s_branch .LBB3_5
.LBB3_3:                                ;   in Loop: Header=BB3_5 Depth=1
	s_wait_xcnt 0x0
	s_or_b32 exec_lo, exec_lo, s22
.LBB3_4:                                ;   in Loop: Header=BB3_5 Depth=1
	s_add_co_i32 s2, s2, 0x10000
	s_delay_alu instid0(SALU_CYCLE_1)
	s_cmp_lt_u32 s2, s31
	s_cbranch_scc0 .LBB3_35
.LBB3_5:                                ; =>This Loop Header: Depth=1
                                        ;     Child Loop BB3_18 Depth 2
	s_and_not1_b32 vcc_lo, exec_lo, s35
	s_cbranch_vccnz .LBB3_4
; %bb.6:                                ;   in Loop: Header=BB3_5 Depth=1
	s_mul_u64 s[20:21], s[26:27], s[2:3]
	s_and_not1_b32 vcc_lo, exec_lo, s34
	s_lshl_b64 s[20:21], s[20:21], 2
	s_delay_alu instid0(SALU_CYCLE_1)
	s_add_nc_u64 s[20:21], s[14:15], s[20:21]
	s_cbranch_vccnz .LBB3_10
; %bb.7:                                ;   in Loop: Header=BB3_5 Depth=1
	s_mov_b32 s22, 0
	s_mov_b32 s24, 0
                                        ; implicit-def: $vgpr8
	s_and_saveexec_b32 s23, s36
	s_cbranch_execz .LBB3_11
; %bb.8:                                ;   in Loop: Header=BB3_5 Depth=1
	s_and_not1_b32 vcc_lo, exec_lo, s37
	s_cbranch_vccnz .LBB3_12
; %bb.9:                                ;   in Loop: Header=BB3_5 Depth=1
	v_lshl_add_u64 v[14:15], v[4:5], 2, s[20:21]
	global_load_b32 v8, v[14:15], off
	s_wait_loadcnt 0x0
	v_mul_f32_e32 v8, s33, v8
	s_branch .LBB3_13
.LBB3_10:                               ;   in Loop: Header=BB3_5 Depth=1
	s_mov_b32 s24, 0
                                        ; implicit-def: $vgpr8
	s_cbranch_execnz .LBB3_14
	s_branch .LBB3_33
.LBB3_11:                               ;   in Loop: Header=BB3_5 Depth=1
	s_or_b32 exec_lo, exec_lo, s23
	s_delay_alu instid0(SALU_CYCLE_1)
	s_and_b32 vcc_lo, exec_lo, s22
	s_cbranch_vccnz .LBB3_14
	s_branch .LBB3_33
.LBB3_12:                               ;   in Loop: Header=BB3_5 Depth=1
	v_mov_b32_e32 v8, 0
.LBB3_13:                               ;   in Loop: Header=BB3_5 Depth=1
	s_mov_b32 s24, exec_lo
	s_wait_xcnt 0x0
	s_or_b32 exec_lo, exec_lo, s23
	s_delay_alu instid0(SALU_CYCLE_1)
	s_and_b32 vcc_lo, exec_lo, s22
	s_cbranch_vccz .LBB3_33
.LBB3_14:                               ;   in Loop: Header=BB3_5 Depth=1
	v_mov_b32_e32 v24, 0
	s_and_saveexec_b32 s25, s0
	s_cbranch_execz .LBB3_28
; %bb.15:                               ;   in Loop: Header=BB3_5 Depth=1
	v_mad_nc_u64_u32 v[14:15], s4, s2, v[12:13]
	s_mul_u64 s[22:23], s[10:11], s[2:3]
	v_mov_b64_e32 v[18:19], v[2:3]
	s_lshl_b64 s[22:23], s[22:23], 2
	s_mul_u64 s[38:39], s[18:19], s[2:3]
	s_add_nc_u64 s[22:23], s[6:7], s[22:23]
	v_dual_mov_b32 v24, 0 :: v_dual_mov_b32 v25, v1
	v_lshl_add_u64 v[16:17], v[6:7], 2, s[22:23]
	v_mov_b32_e32 v8, v2
	s_lshl_b64 s[38:39], s[38:39], 2
	v_mad_u32 v15, s5, s2, v15
	s_add_nc_u64 s[22:23], s[12:13], s[38:39]
	s_mov_b32 s38, 0
	s_branch .LBB3_18
.LBB3_16:                               ;   in Loop: Header=BB3_18 Depth=2
	s_wait_xcnt 0x0
	s_or_b32 exec_lo, exec_lo, s41
.LBB3_17:                               ;   in Loop: Header=BB3_18 Depth=2
	s_delay_alu instid0(SALU_CYCLE_1) | instskip(SKIP_1) | instid1(VALU_DEP_2)
	s_or_b32 exec_lo, exec_lo, s39
	v_add_nc_u64_e32 v[18:19], 16, v[18:19]
	v_add_nc_u64_e32 v[14:15], s[8:9], v[14:15]
	v_dual_add_nc_u32 v8, 16, v8 :: v_dual_add_nc_u32 v25, -16, v25
	s_delay_alu instid0(VALU_DEP_3) | instskip(SKIP_1) | instid1(SALU_CYCLE_1)
	v_cmp_le_i32_e32 vcc_lo, s28, v18
	s_or_b32 s38, vcc_lo, s38
	s_and_not1_b32 exec_lo, exec_lo, s38
	s_cbranch_execz .LBB3_27
.LBB3_18:                               ;   Parent Loop BB3_5 Depth=1
                                        ; =>  This Inner Loop Header: Depth=2
	s_and_saveexec_b32 s39, s1
	s_cbranch_execz .LBB3_17
; %bb.19:                               ;   in Loop: Header=BB3_18 Depth=2
	s_mov_b32 s40, 0
	s_mov_b32 s41, exec_lo
	v_cmpx_ge_i32_e64 v0, v18
	s_xor_b32 s41, exec_lo, s41
; %bb.20:                               ;   in Loop: Header=BB3_18 Depth=2
	v_cmp_ge_i32_e32 vcc_lo, s29, v25
	s_and_b32 s40, vcc_lo, exec_lo
; %bb.21:                               ;   in Loop: Header=BB3_18 Depth=2
	s_or_saveexec_b32 s41, s41
	v_mov_b64_e32 v[20:21], v[14:15]
	v_mov_b64_e32 v[22:23], v[18:19]
	s_xor_b32 exec_lo, exec_lo, s41
	s_cbranch_execz .LBB3_25
; %bb.22:                               ;   in Loop: Header=BB3_18 Depth=2
	v_add_nc_u32_e32 v20, v10, v18
	s_mov_b32 s43, s40
                                        ; implicit-def: $vgpr22_vgpr23
	s_delay_alu instid0(VALU_DEP_1)
	v_cmp_ge_i32_e32 vcc_lo, s29, v20
                                        ; implicit-def: $vgpr20_vgpr21
	s_and_saveexec_b32 s42, vcc_lo
; %bb.23:                               ;   in Loop: Header=BB3_18 Depth=2
	v_sub_nc_u32_e32 v20, v8, v0
	v_mov_b64_e32 v[22:23], v[8:9]
	s_or_b32 s43, s40, exec_lo
	s_delay_alu instid0(VALU_DEP_2) | instskip(NEXT) | instid1(VALU_DEP_1)
	v_ashrrev_i32_e32 v21, 31, v20
	v_lshl_add_u64 v[20:21], v[20:21], 2, v[16:17]
; %bb.24:                               ;   in Loop: Header=BB3_18 Depth=2
	s_or_b32 exec_lo, exec_lo, s42
	s_delay_alu instid0(SALU_CYCLE_1) | instskip(SKIP_1) | instid1(SALU_CYCLE_1)
	s_and_not1_b32 s40, s40, exec_lo
	s_and_b32 s42, s43, exec_lo
	s_or_b32 s40, s40, s42
.LBB3_25:                               ;   in Loop: Header=BB3_18 Depth=2
	s_or_b32 exec_lo, exec_lo, s41
	s_and_saveexec_b32 s41, s40
	s_cbranch_execz .LBB3_16
; %bb.26:                               ;   in Loop: Header=BB3_18 Depth=2
	s_delay_alu instid0(VALU_DEP_1) | instskip(NEXT) | instid1(VALU_DEP_1)
	v_mul_u64_e32 v[22:23], s[16:17], v[22:23]
	v_lshl_add_u64 v[22:23], v[22:23], 2, s[22:23]
	global_load_b32 v26, v[20:21], off
	global_load_b32 v27, v[22:23], off
	s_wait_loadcnt 0x0
	v_fmac_f32_e32 v24, v26, v27
	s_branch .LBB3_16
.LBB3_27:                               ;   in Loop: Header=BB3_5 Depth=1
	s_or_b32 exec_lo, exec_lo, s38
.LBB3_28:                               ;   in Loop: Header=BB3_5 Depth=1
	s_delay_alu instid0(SALU_CYCLE_1)
	s_or_b32 exec_lo, exec_lo, s25
	ds_store_b32 v11, v24
	s_wait_dscnt 0x0
	s_barrier_signal -1
	s_barrier_wait -1
                                        ; implicit-def: $vgpr8
	s_and_saveexec_b32 s22, s36
	s_cbranch_execz .LBB3_32
; %bb.29:                               ;   in Loop: Header=BB3_5 Depth=1
	ds_load_2addr_stride64_b32 v[14:15], v11 offset1:1
	ds_load_2addr_stride64_b32 v[16:17], v11 offset0:2 offset1:3
	ds_load_2addr_stride64_b32 v[18:19], v11 offset0:4 offset1:5
	;; [unrolled: 1-line block ×3, first 2 shown]
	s_and_not1_b32 vcc_lo, exec_lo, s37
	s_wait_dscnt 0x3
	v_add_f32_e32 v8, v14, v15
	ds_load_2addr_stride64_b32 v[14:15], v11 offset0:8 offset1:9
	s_wait_dscnt 0x3
	v_add_f32_e32 v8, v16, v8
	s_delay_alu instid0(VALU_DEP_1) | instskip(SKIP_3) | instid1(VALU_DEP_1)
	v_add_f32_e32 v8, v17, v8
	ds_load_2addr_stride64_b32 v[16:17], v11 offset0:10 offset1:11
	s_wait_dscnt 0x3
	v_add_f32_e32 v8, v18, v8
	v_add_f32_e32 v8, v19, v8
	s_wait_dscnt 0x2
	s_delay_alu instid0(VALU_DEP_1) | instskip(NEXT) | instid1(VALU_DEP_1)
	v_add_f32_e32 v8, v20, v8
	v_add_f32_e32 v8, v21, v8
	ds_load_2addr_stride64_b32 v[18:19], v11 offset0:12 offset1:13
	ds_load_2addr_stride64_b32 v[20:21], v11 offset0:14 offset1:15
	s_wait_dscnt 0x3
	v_add_f32_e32 v8, v14, v8
	s_delay_alu instid0(VALU_DEP_1) | instskip(SKIP_1) | instid1(VALU_DEP_1)
	v_add_f32_e32 v8, v15, v8
	s_wait_dscnt 0x2
	v_add_f32_e32 v8, v16, v8
	s_delay_alu instid0(VALU_DEP_1) | instskip(SKIP_1) | instid1(VALU_DEP_1)
	v_add_f32_e32 v8, v17, v8
	;; [unrolled: 4-line block ×3, first 2 shown]
	s_wait_dscnt 0x0
	v_add_f32_e32 v8, v20, v8
	s_delay_alu instid0(VALU_DEP_1) | instskip(NEXT) | instid1(VALU_DEP_1)
	v_add_f32_e32 v14, v21, v8
	v_mul_f32_e32 v8, s30, v14
	ds_store_b32 v11, v14
	s_cbranch_vccnz .LBB3_31
; %bb.30:                               ;   in Loop: Header=BB3_5 Depth=1
	v_lshl_add_u64 v[14:15], v[4:5], 2, s[20:21]
	global_load_b32 v14, v[14:15], off
	s_wait_loadcnt 0x0
	v_fmac_f32_e32 v8, s33, v14
.LBB3_31:                               ;   in Loop: Header=BB3_5 Depth=1
	s_or_b32 s24, s24, exec_lo
.LBB3_32:                               ;   in Loop: Header=BB3_5 Depth=1
	s_wait_xcnt 0x0
	s_or_b32 exec_lo, exec_lo, s22
.LBB3_33:                               ;   in Loop: Header=BB3_5 Depth=1
	s_and_saveexec_b32 s22, s24
	s_cbranch_execz .LBB3_3
; %bb.34:                               ;   in Loop: Header=BB3_5 Depth=1
	v_lshl_add_u64 v[14:15], v[4:5], 2, s[20:21]
	global_store_b32 v[14:15], v8, off
	s_branch .LBB3_3
.LBB3_35:
	s_endpgm
	.section	.rodata,"a",@progbits
	.p2align	6, 0x0
	.amdhsa_kernel _ZL19rocblas_sbmv_kernelILb0ELi64ELi16EfPKfPfEviiT2_lT3_lllS4_lllS3_lT4_llli
		.amdhsa_group_segment_fixed_size 4096
		.amdhsa_private_segment_fixed_size 0
		.amdhsa_kernarg_size 400
		.amdhsa_user_sgpr_count 2
		.amdhsa_user_sgpr_dispatch_ptr 0
		.amdhsa_user_sgpr_queue_ptr 0
		.amdhsa_user_sgpr_kernarg_segment_ptr 1
		.amdhsa_user_sgpr_dispatch_id 0
		.amdhsa_user_sgpr_kernarg_preload_length 0
		.amdhsa_user_sgpr_kernarg_preload_offset 0
		.amdhsa_user_sgpr_private_segment_size 0
		.amdhsa_wavefront_size32 1
		.amdhsa_uses_dynamic_stack 0
		.amdhsa_enable_private_segment 0
		.amdhsa_system_sgpr_workgroup_id_x 1
		.amdhsa_system_sgpr_workgroup_id_y 0
		.amdhsa_system_sgpr_workgroup_id_z 1
		.amdhsa_system_sgpr_workgroup_info 0
		.amdhsa_system_vgpr_workitem_id 1
		.amdhsa_next_free_vgpr 28
		.amdhsa_next_free_sgpr 44
		.amdhsa_named_barrier_count 0
		.amdhsa_reserve_vcc 1
		.amdhsa_float_round_mode_32 0
		.amdhsa_float_round_mode_16_64 0
		.amdhsa_float_denorm_mode_32 3
		.amdhsa_float_denorm_mode_16_64 3
		.amdhsa_fp16_overflow 0
		.amdhsa_memory_ordered 1
		.amdhsa_forward_progress 1
		.amdhsa_inst_pref_size 10
		.amdhsa_round_robin_scheduling 0
		.amdhsa_exception_fp_ieee_invalid_op 0
		.amdhsa_exception_fp_denorm_src 0
		.amdhsa_exception_fp_ieee_div_zero 0
		.amdhsa_exception_fp_ieee_overflow 0
		.amdhsa_exception_fp_ieee_underflow 0
		.amdhsa_exception_fp_ieee_inexact 0
		.amdhsa_exception_int_div_zero 0
	.end_amdhsa_kernel
	.section	.text._ZL19rocblas_sbmv_kernelILb0ELi64ELi16EfPKfPfEviiT2_lT3_lllS4_lllS3_lT4_llli,"axG",@progbits,_ZL19rocblas_sbmv_kernelILb0ELi64ELi16EfPKfPfEviiT2_lT3_lllS4_lllS3_lT4_llli,comdat
.Lfunc_end3:
	.size	_ZL19rocblas_sbmv_kernelILb0ELi64ELi16EfPKfPfEviiT2_lT3_lllS4_lllS3_lT4_llli, .Lfunc_end3-_ZL19rocblas_sbmv_kernelILb0ELi64ELi16EfPKfPfEviiT2_lT3_lllS4_lllS3_lT4_llli
                                        ; -- End function
	.set _ZL19rocblas_sbmv_kernelILb0ELi64ELi16EfPKfPfEviiT2_lT3_lllS4_lllS3_lT4_llli.num_vgpr, 28
	.set _ZL19rocblas_sbmv_kernelILb0ELi64ELi16EfPKfPfEviiT2_lT3_lllS4_lllS3_lT4_llli.num_agpr, 0
	.set _ZL19rocblas_sbmv_kernelILb0ELi64ELi16EfPKfPfEviiT2_lT3_lllS4_lllS3_lT4_llli.numbered_sgpr, 44
	.set _ZL19rocblas_sbmv_kernelILb0ELi64ELi16EfPKfPfEviiT2_lT3_lllS4_lllS3_lT4_llli.num_named_barrier, 0
	.set _ZL19rocblas_sbmv_kernelILb0ELi64ELi16EfPKfPfEviiT2_lT3_lllS4_lllS3_lT4_llli.private_seg_size, 0
	.set _ZL19rocblas_sbmv_kernelILb0ELi64ELi16EfPKfPfEviiT2_lT3_lllS4_lllS3_lT4_llli.uses_vcc, 1
	.set _ZL19rocblas_sbmv_kernelILb0ELi64ELi16EfPKfPfEviiT2_lT3_lllS4_lllS3_lT4_llli.uses_flat_scratch, 0
	.set _ZL19rocblas_sbmv_kernelILb0ELi64ELi16EfPKfPfEviiT2_lT3_lllS4_lllS3_lT4_llli.has_dyn_sized_stack, 0
	.set _ZL19rocblas_sbmv_kernelILb0ELi64ELi16EfPKfPfEviiT2_lT3_lllS4_lllS3_lT4_llli.has_recursion, 0
	.set _ZL19rocblas_sbmv_kernelILb0ELi64ELi16EfPKfPfEviiT2_lT3_lllS4_lllS3_lT4_llli.has_indirect_call, 0
	.section	.AMDGPU.csdata,"",@progbits
; Kernel info:
; codeLenInByte = 1280
; TotalNumSgprs: 46
; NumVgprs: 28
; ScratchSize: 0
; MemoryBound: 0
; FloatMode: 240
; IeeeMode: 1
; LDSByteSize: 4096 bytes/workgroup (compile time only)
; SGPRBlocks: 0
; VGPRBlocks: 1
; NumSGPRsForWavesPerEU: 46
; NumVGPRsForWavesPerEU: 28
; NamedBarCnt: 0
; Occupancy: 16
; WaveLimiterHint : 1
; COMPUTE_PGM_RSRC2:SCRATCH_EN: 0
; COMPUTE_PGM_RSRC2:USER_SGPR: 2
; COMPUTE_PGM_RSRC2:TRAP_HANDLER: 0
; COMPUTE_PGM_RSRC2:TGID_X_EN: 1
; COMPUTE_PGM_RSRC2:TGID_Y_EN: 0
; COMPUTE_PGM_RSRC2:TGID_Z_EN: 1
; COMPUTE_PGM_RSRC2:TIDIG_COMP_CNT: 1
	.section	.text._ZL19rocblas_sbmv_kernelILb1ELi64ELi16EPKdS1_PdEviiT2_lT3_lllS4_lllS3_lT4_llli,"axG",@progbits,_ZL19rocblas_sbmv_kernelILb1ELi64ELi16EPKdS1_PdEviiT2_lT3_lllS4_lllS3_lT4_llli,comdat
	.globl	_ZL19rocblas_sbmv_kernelILb1ELi64ELi16EPKdS1_PdEviiT2_lT3_lllS4_lllS3_lT4_llli ; -- Begin function _ZL19rocblas_sbmv_kernelILb1ELi64ELi16EPKdS1_PdEviiT2_lT3_lllS4_lllS3_lT4_llli
	.p2align	8
	.type	_ZL19rocblas_sbmv_kernelILb1ELi64ELi16EPKdS1_PdEviiT2_lT3_lllS4_lllS3_lT4_llli,@function
_ZL19rocblas_sbmv_kernelILb1ELi64ELi16EPKdS1_PdEviiT2_lT3_lllS4_lllS3_lT4_llli: ; @_ZL19rocblas_sbmv_kernelILb1ELi64ELi16EPKdS1_PdEviiT2_lT3_lllS4_lllS3_lT4_llli
; %bb.0:
	s_load_b64 s[2:3], s[0:1], 0x9c
	s_wait_kmcnt 0x0
	s_lshr_b32 s4, s2, 16
	s_and_b32 s2, s2, 0xffff
	s_and_b32 s3, s3, 0xffff
	s_mul_i32 s4, s4, s2
	s_delay_alu instid0(SALU_CYCLE_1) | instskip(NEXT) | instid1(SALU_CYCLE_1)
	s_mul_i32 s4, s4, s3
	s_cmp_lg_u32 s4, 0x400
	s_cbranch_scc1 .LBB4_34
; %bb.1:
	s_load_b32 s26, s[0:1], 0x88
	s_bfe_u32 s3, ttmp6, 0x40014
	s_lshr_b32 s4, ttmp7, 16
	s_add_co_i32 s3, s3, 1
	s_bfe_u32 s6, ttmp6, 0x40008
	s_mul_i32 s5, s4, s3
	s_getreg_b32 s3, hwreg(HW_REG_IB_STS2, 6, 4)
	s_add_co_i32 s6, s6, s5
	s_cmp_eq_u32 s3, 0
	s_mov_b32 s21, 0
	s_cselect_b32 s20, s4, s6
	s_wait_kmcnt 0x0
	s_cmp_ge_u32 s20, s26
	s_cbranch_scc1 .LBB4_34
; %bb.2:
	s_clause 0x1
	s_load_b512 s[4:19], s[0:1], 0x8
	s_load_b512 s[36:51], s[0:1], 0x48
	v_and_b32_e32 v2, 0x3ff, v0
	v_bfe_u32 v0, v0, 10, 10
	s_bfe_u32 s22, ttmp6, 0x4000c
	s_and_b32 s23, ttmp6, 15
	s_add_co_i32 s22, s22, 1
	s_delay_alu instid0(VALU_DEP_1) | instskip(SKIP_3) | instid1(VALU_DEP_2)
	v_mad_u32_u24 v0, v0, s2, v2
	s_mul_i32 s22, ttmp9, s22
	v_mov_b32_e32 v1, 0
	s_add_co_i32 s2, s23, s22
	v_dual_lshrrev_b32 v2, 6, v0 :: v_dual_bitop2_b32 v14, 63, v0 bitop3:0x40
	s_delay_alu instid0(VALU_DEP_2)
	v_mov_b32_e32 v3, v1
	v_cmp_gt_u32_e32 vcc_lo, 64, v0
	s_wait_kmcnt 0x0
	s_lshl_b64 s[22:23], s[10:11], 3
	s_lshl_b64 s[18:19], s[18:19], 3
	;; [unrolled: 1-line block ×3, first 2 shown]
	s_cmp_eq_u32 s3, 0
	v_mul_u64_e32 v[12:13], s[12:13], v[2:3]
	s_cselect_b32 s2, ttmp9, s2
	s_load_b64 s[10:11], s[0:1], 0x0
	s_lshl_b32 s3, s2, 6
	s_add_nc_u64 s[8:9], s[8:9], s[22:23]
	v_dual_add_nc_u32 v10, s3, v0 :: v_dual_bitop2_b32 v4, s3, v14 bitop3:0x54
	s_add_nc_u64 s[16:17], s[16:17], s[18:19]
	s_add_nc_u64 s[18:19], s[44:45], s[24:25]
	s_lshl_b64 s[22:23], s[14:15], 3
	s_delay_alu instid0(VALU_DEP_1) | instskip(NEXT) | instid1(VALU_DEP_1)
	v_dual_ashrrev_i32 v11, 31, v10 :: v_dual_ashrrev_i32 v5, 31, v4
	v_mul_u64_e32 v[6:7], s[48:49], v[10:11]
	s_delay_alu instid0(VALU_DEP_2)
	v_mul_u64_e32 v[8:9], s[12:13], v[4:5]
	v_lshlrev_b32_e32 v5, 3, v0
	s_lshl_b64 s[12:13], s[12:13], 7
	s_wait_kmcnt 0x0
	v_add3_u32 v15, s11, s3, v14
	v_sub_nc_u32_e32 v14, s11, v14
	v_cmp_gt_i32_e64 s2, s10, v10
	v_cmp_gt_i32_e64 s0, s10, v2
	;; [unrolled: 1-line block ×3, first 2 shown]
	s_and_b32 s11, vcc_lo, s2
	v_lshl_add_u64 v[10:11], v[12:13], 3, s[8:9]
	v_sub_nc_u32_e32 v13, v15, v2
	v_subrev_nc_u32_e32 v12, s3, v14
	s_branch .LBB4_5
.LBB4_3:                                ;   in Loop: Header=BB4_5 Depth=1
	s_wait_xcnt 0x0
	s_or_b32 exec_lo, exec_lo, s24
.LBB4_4:                                ;   in Loop: Header=BB4_5 Depth=1
	s_add_co_i32 s20, s20, 0x10000
	s_delay_alu instid0(SALU_CYCLE_1)
	s_cmp_lt_u32 s20, s26
	s_cbranch_scc0 .LBB4_34
.LBB4_5:                                ; =>This Loop Header: Depth=1
                                        ;     Child Loop BB4_17 Depth 2
	s_mul_u64 s[2:3], s[6:7], s[20:21]
	s_wait_xcnt 0x0
	s_mul_u64 s[24:25], s[42:43], s[20:21]
	s_lshl_b64 s[2:3], s[2:3], 3
	s_lshl_b64 s[24:25], s[24:25], 3
	s_add_nc_u64 s[2:3], s[4:5], s[2:3]
	s_add_nc_u64 s[24:25], s[40:41], s[24:25]
	s_clause 0x1
	global_load_b64 v[16:17], v1, s[2:3]
	global_load_b64 v[14:15], v1, s[24:25]
	s_wait_loadcnt 0x1
	v_cmp_eq_f64_e32 vcc_lo, 0, v[16:17]
	s_wait_loadcnt 0x0
	s_wait_xcnt 0x1
	v_cmp_eq_f64_e64 s2, 1.0, v[14:15]
	s_and_b32 s2, vcc_lo, s2
	s_delay_alu instid0(SALU_CYCLE_1)
	s_and_b32 vcc_lo, exec_lo, s2
	s_cbranch_vccnz .LBB4_4
; %bb.6:                                ;   in Loop: Header=BB4_5 Depth=1
	v_cmp_neq_f64_e32 vcc_lo, 0, v[16:17]
	s_mul_u64 s[2:3], s[50:51], s[20:21]
	s_delay_alu instid0(SALU_CYCLE_1) | instskip(NEXT) | instid1(SALU_CYCLE_1)
	s_lshl_b64 s[2:3], s[2:3], 3
	s_add_nc_u64 s[2:3], s[18:19], s[2:3]
	s_cbranch_vccnz .LBB4_11
; %bb.7:                                ;   in Loop: Header=BB4_5 Depth=1
	s_wait_xcnt 0x0
	s_mov_b32 s24, 0
	s_mov_b32 s27, 0
                                        ; implicit-def: $vgpr18_vgpr19
	s_and_saveexec_b32 s25, s11
	s_cbranch_execz .LBB4_12
; %bb.8:                                ;   in Loop: Header=BB4_5 Depth=1
	v_cmp_eq_f64_e32 vcc_lo, 0, v[14:15]
	v_mov_b64_e32 v[18:19], 0
	s_cbranch_vccnz .LBB4_10
; %bb.9:                                ;   in Loop: Header=BB4_5 Depth=1
	v_lshl_add_u64 v[18:19], v[6:7], 3, s[2:3]
	global_load_b64 v[18:19], v[18:19], off
	s_wait_loadcnt 0x0
	s_wait_xcnt 0x0
	v_mul_f64_e32 v[18:19], v[14:15], v[18:19]
.LBB4_10:                               ;   in Loop: Header=BB4_5 Depth=1
	s_mov_b32 s27, exec_lo
	s_or_b32 exec_lo, exec_lo, s25
	s_delay_alu instid0(SALU_CYCLE_1)
	s_and_b32 vcc_lo, exec_lo, s24
	s_cbranch_vccnz .LBB4_13
	s_branch .LBB4_32
.LBB4_11:                               ;   in Loop: Header=BB4_5 Depth=1
	s_wait_xcnt 0x0
	s_mov_b32 s27, 0
                                        ; implicit-def: $vgpr18_vgpr19
	s_cbranch_execnz .LBB4_13
	s_branch .LBB4_32
.LBB4_12:                               ;   in Loop: Header=BB4_5 Depth=1
	s_or_b32 exec_lo, exec_lo, s25
	s_delay_alu instid0(SALU_CYCLE_1)
	s_and_b32 vcc_lo, exec_lo, s24
	s_cbranch_vccz .LBB4_32
.LBB4_13:                               ;   in Loop: Header=BB4_5 Depth=1
	v_mov_b64_e32 v[18:19], 0
	s_and_saveexec_b32 s28, s0
	s_cbranch_execz .LBB4_27
; %bb.14:                               ;   in Loop: Header=BB4_5 Depth=1
	v_mad_nc_u64_u32 v[20:21], s22, s20, v[10:11]
	s_mul_u64 s[24:25], s[14:15], s[20:21]
	v_mov_b64_e32 v[18:19], 0
	s_lshl_b64 s[24:25], s[24:25], 3
	v_mov_b64_e32 v[24:25], v[2:3]
	s_add_nc_u64 s[24:25], s[8:9], s[24:25]
	s_mul_u64 s[30:31], s[38:39], s[20:21]
	v_lshl_add_u64 v[22:23], v[8:9], 3, s[24:25]
	v_dual_mov_b32 v0, v13 :: v_dual_mov_b32 v26, v2
	s_lshl_b64 s[30:31], s[30:31], 3
	v_mad_u32 v21, s23, s20, v21
	s_add_nc_u64 s[24:25], s[16:17], s[30:31]
	s_mov_b32 s29, 0
	s_branch .LBB4_17
.LBB4_15:                               ;   in Loop: Header=BB4_17 Depth=2
	s_wait_xcnt 0x0
	s_or_b32 exec_lo, exec_lo, s33
.LBB4_16:                               ;   in Loop: Header=BB4_17 Depth=2
	s_delay_alu instid0(SALU_CYCLE_1) | instskip(SKIP_1) | instid1(VALU_DEP_2)
	s_or_b32 exec_lo, exec_lo, s30
	v_add_nc_u64_e32 v[24:25], 16, v[24:25]
	v_add_nc_u64_e32 v[20:21], s[12:13], v[20:21]
	v_dual_add_nc_u32 v26, 16, v26 :: v_dual_add_nc_u32 v0, -16, v0
	s_delay_alu instid0(VALU_DEP_3) | instskip(SKIP_1) | instid1(SALU_CYCLE_1)
	v_cmp_le_i32_e32 vcc_lo, s10, v24
	s_or_b32 s29, vcc_lo, s29
	s_and_not1_b32 exec_lo, exec_lo, s29
	s_cbranch_execz .LBB4_26
.LBB4_17:                               ;   Parent Loop BB4_5 Depth=1
                                        ; =>  This Inner Loop Header: Depth=2
	s_and_saveexec_b32 s30, s1
	s_cbranch_execz .LBB4_16
; %bb.18:                               ;   in Loop: Header=BB4_17 Depth=2
	s_mov_b32 s31, 0
	s_mov_b32 s33, exec_lo
                                        ; implicit-def: $vgpr28_vgpr29
	v_cmpx_le_i32_e64 v4, v24
	s_xor_b32 s33, exec_lo, s33
	s_cbranch_execnz .LBB4_21
; %bb.19:                               ;   in Loop: Header=BB4_17 Depth=2
	s_or_saveexec_b32 s33, s33
	v_mov_b64_e32 v[30:31], v[24:25]
	s_xor_b32 exec_lo, exec_lo, s33
	s_cbranch_execnz .LBB4_22
.LBB4_20:                               ;   in Loop: Header=BB4_17 Depth=2
	s_or_b32 exec_lo, exec_lo, s33
	s_and_saveexec_b32 s33, s31
	s_cbranch_execz .LBB4_15
	s_branch .LBB4_25
.LBB4_21:                               ;   in Loop: Header=BB4_17 Depth=2
	v_cmp_lt_i32_e32 vcc_lo, -1, v0
	v_lshl_add_u64 v[28:29], v[0:1], 3, v[20:21]
	s_and_b32 s31, vcc_lo, exec_lo
	s_or_saveexec_b32 s33, s33
	v_mov_b64_e32 v[30:31], v[24:25]
	s_xor_b32 exec_lo, exec_lo, s33
	s_cbranch_execz .LBB4_20
.LBB4_22:                               ;   in Loop: Header=BB4_17 Depth=2
	v_add_nc_u32_e32 v32, v12, v24
	s_mov_b32 s35, s31
	s_mov_b32 s34, exec_lo
                                        ; implicit-def: $vgpr28_vgpr29
                                        ; implicit-def: $vgpr30_vgpr31
	s_delay_alu instid0(VALU_DEP_1)
	v_cmpx_lt_i32_e32 -1, v32
; %bb.23:                               ;   in Loop: Header=BB4_17 Depth=2
	v_dual_mov_b32 v33, v1 :: v_dual_mov_b32 v27, v1
	s_or_b32 s35, s31, exec_lo
	s_delay_alu instid0(VALU_DEP_1) | instskip(NEXT) | instid1(VALU_DEP_2)
	v_lshl_add_u64 v[28:29], v[32:33], 3, v[22:23]
	v_mov_b64_e32 v[30:31], v[26:27]
; %bb.24:                               ;   in Loop: Header=BB4_17 Depth=2
	s_or_b32 exec_lo, exec_lo, s34
	s_delay_alu instid0(SALU_CYCLE_1) | instskip(SKIP_1) | instid1(SALU_CYCLE_1)
	s_and_not1_b32 s31, s31, exec_lo
	s_and_b32 s34, s35, exec_lo
	s_or_b32 s31, s31, s34
	s_or_b32 exec_lo, exec_lo, s33
	s_and_saveexec_b32 s33, s31
	s_cbranch_execz .LBB4_15
.LBB4_25:                               ;   in Loop: Header=BB4_17 Depth=2
	v_mul_u64_e32 v[30:31], s[36:37], v[30:31]
	s_delay_alu instid0(VALU_DEP_1)
	v_lshl_add_u64 v[30:31], v[30:31], 3, s[24:25]
	global_load_b64 v[32:33], v[28:29], off
	global_load_b64 v[34:35], v[30:31], off
	s_wait_loadcnt 0x0
	v_fmac_f64_e32 v[18:19], v[32:33], v[34:35]
	s_branch .LBB4_15
.LBB4_26:                               ;   in Loop: Header=BB4_5 Depth=1
	s_or_b32 exec_lo, exec_lo, s29
.LBB4_27:                               ;   in Loop: Header=BB4_5 Depth=1
	s_delay_alu instid0(SALU_CYCLE_1)
	s_or_b32 exec_lo, exec_lo, s28
	ds_store_b64 v5, v[18:19]
	s_wait_dscnt 0x0
	s_barrier_signal -1
	s_barrier_wait -1
                                        ; implicit-def: $vgpr18_vgpr19
	s_and_saveexec_b32 s24, s11
	s_cbranch_execz .LBB4_31
; %bb.28:                               ;   in Loop: Header=BB4_5 Depth=1
	ds_load_2addr_stride64_b64 v[18:21], v5 offset1:1
	ds_load_2addr_stride64_b64 v[22:25], v5 offset0:2 offset1:3
	v_cmp_eq_f64_e32 vcc_lo, 0, v[14:15]
	s_wait_dscnt 0x1
	v_add_f64_e32 v[18:19], v[18:19], v[20:21]
	s_and_b32 vcc_lo, exec_lo, vcc_lo
	s_wait_dscnt 0x0
	s_delay_alu instid0(VALU_DEP_1) | instskip(NEXT) | instid1(VALU_DEP_1)
	v_add_f64_e32 v[18:19], v[22:23], v[18:19]
	v_add_f64_e32 v[26:27], v[24:25], v[18:19]
	ds_load_2addr_stride64_b64 v[18:21], v5 offset0:4 offset1:5
	ds_load_2addr_stride64_b64 v[22:25], v5 offset0:6 offset1:7
	s_wait_dscnt 0x1
	v_add_f64_e32 v[18:19], v[18:19], v[26:27]
	s_delay_alu instid0(VALU_DEP_1) | instskip(SKIP_1) | instid1(VALU_DEP_1)
	v_add_f64_e32 v[18:19], v[20:21], v[18:19]
	s_wait_dscnt 0x0
	v_add_f64_e32 v[18:19], v[22:23], v[18:19]
	s_delay_alu instid0(VALU_DEP_1) | instskip(SKIP_4) | instid1(VALU_DEP_1)
	v_add_f64_e32 v[26:27], v[24:25], v[18:19]
	ds_load_2addr_stride64_b64 v[18:21], v5 offset0:8 offset1:9
	ds_load_2addr_stride64_b64 v[22:25], v5 offset0:10 offset1:11
	s_wait_dscnt 0x1
	v_add_f64_e32 v[18:19], v[18:19], v[26:27]
	v_add_f64_e32 v[18:19], v[20:21], v[18:19]
	s_wait_dscnt 0x0
	s_delay_alu instid0(VALU_DEP_1) | instskip(NEXT) | instid1(VALU_DEP_1)
	v_add_f64_e32 v[18:19], v[22:23], v[18:19]
	v_add_f64_e32 v[26:27], v[24:25], v[18:19]
	ds_load_2addr_stride64_b64 v[18:21], v5 offset0:12 offset1:13
	ds_load_2addr_stride64_b64 v[22:25], v5 offset0:14 offset1:15
	s_wait_dscnt 0x1
	v_add_f64_e32 v[18:19], v[18:19], v[26:27]
	s_delay_alu instid0(VALU_DEP_1) | instskip(SKIP_1) | instid1(VALU_DEP_1)
	v_add_f64_e32 v[18:19], v[20:21], v[18:19]
	s_wait_dscnt 0x0
	v_add_f64_e32 v[18:19], v[22:23], v[18:19]
	s_delay_alu instid0(VALU_DEP_1) | instskip(NEXT) | instid1(VALU_DEP_1)
	v_add_f64_e32 v[20:21], v[24:25], v[18:19]
	v_mul_f64_e32 v[18:19], v[16:17], v[20:21]
	ds_store_b64 v5, v[20:21]
	s_cbranch_vccnz .LBB4_30
; %bb.29:                               ;   in Loop: Header=BB4_5 Depth=1
	v_lshl_add_u64 v[16:17], v[6:7], 3, s[2:3]
	global_load_b64 v[16:17], v[16:17], off
	s_wait_loadcnt 0x0
	v_fmac_f64_e32 v[18:19], v[14:15], v[16:17]
.LBB4_30:                               ;   in Loop: Header=BB4_5 Depth=1
	s_or_b32 s27, s27, exec_lo
.LBB4_31:                               ;   in Loop: Header=BB4_5 Depth=1
	s_wait_xcnt 0x0
	s_or_b32 exec_lo, exec_lo, s24
.LBB4_32:                               ;   in Loop: Header=BB4_5 Depth=1
	s_and_saveexec_b32 s24, s27
	s_cbranch_execz .LBB4_3
; %bb.33:                               ;   in Loop: Header=BB4_5 Depth=1
	v_lshl_add_u64 v[14:15], v[6:7], 3, s[2:3]
	global_store_b64 v[14:15], v[18:19], off
	s_branch .LBB4_3
.LBB4_34:
	s_endpgm
	.section	.rodata,"a",@progbits
	.p2align	6, 0x0
	.amdhsa_kernel _ZL19rocblas_sbmv_kernelILb1ELi64ELi16EPKdS1_PdEviiT2_lT3_lllS4_lllS3_lT4_llli
		.amdhsa_group_segment_fixed_size 8192
		.amdhsa_private_segment_fixed_size 0
		.amdhsa_kernarg_size 400
		.amdhsa_user_sgpr_count 2
		.amdhsa_user_sgpr_dispatch_ptr 0
		.amdhsa_user_sgpr_queue_ptr 0
		.amdhsa_user_sgpr_kernarg_segment_ptr 1
		.amdhsa_user_sgpr_dispatch_id 0
		.amdhsa_user_sgpr_kernarg_preload_length 0
		.amdhsa_user_sgpr_kernarg_preload_offset 0
		.amdhsa_user_sgpr_private_segment_size 0
		.amdhsa_wavefront_size32 1
		.amdhsa_uses_dynamic_stack 0
		.amdhsa_enable_private_segment 0
		.amdhsa_system_sgpr_workgroup_id_x 1
		.amdhsa_system_sgpr_workgroup_id_y 0
		.amdhsa_system_sgpr_workgroup_id_z 1
		.amdhsa_system_sgpr_workgroup_info 0
		.amdhsa_system_vgpr_workitem_id 1
		.amdhsa_next_free_vgpr 36
		.amdhsa_next_free_sgpr 52
		.amdhsa_named_barrier_count 0
		.amdhsa_reserve_vcc 1
		.amdhsa_float_round_mode_32 0
		.amdhsa_float_round_mode_16_64 0
		.amdhsa_float_denorm_mode_32 3
		.amdhsa_float_denorm_mode_16_64 3
		.amdhsa_fp16_overflow 0
		.amdhsa_memory_ordered 1
		.amdhsa_forward_progress 1
		.amdhsa_inst_pref_size 11
		.amdhsa_round_robin_scheduling 0
		.amdhsa_exception_fp_ieee_invalid_op 0
		.amdhsa_exception_fp_denorm_src 0
		.amdhsa_exception_fp_ieee_div_zero 0
		.amdhsa_exception_fp_ieee_overflow 0
		.amdhsa_exception_fp_ieee_underflow 0
		.amdhsa_exception_fp_ieee_inexact 0
		.amdhsa_exception_int_div_zero 0
	.end_amdhsa_kernel
	.section	.text._ZL19rocblas_sbmv_kernelILb1ELi64ELi16EPKdS1_PdEviiT2_lT3_lllS4_lllS3_lT4_llli,"axG",@progbits,_ZL19rocblas_sbmv_kernelILb1ELi64ELi16EPKdS1_PdEviiT2_lT3_lllS4_lllS3_lT4_llli,comdat
.Lfunc_end4:
	.size	_ZL19rocblas_sbmv_kernelILb1ELi64ELi16EPKdS1_PdEviiT2_lT3_lllS4_lllS3_lT4_llli, .Lfunc_end4-_ZL19rocblas_sbmv_kernelILb1ELi64ELi16EPKdS1_PdEviiT2_lT3_lllS4_lllS3_lT4_llli
                                        ; -- End function
	.set _ZL19rocblas_sbmv_kernelILb1ELi64ELi16EPKdS1_PdEviiT2_lT3_lllS4_lllS3_lT4_llli.num_vgpr, 36
	.set _ZL19rocblas_sbmv_kernelILb1ELi64ELi16EPKdS1_PdEviiT2_lT3_lllS4_lllS3_lT4_llli.num_agpr, 0
	.set _ZL19rocblas_sbmv_kernelILb1ELi64ELi16EPKdS1_PdEviiT2_lT3_lllS4_lllS3_lT4_llli.numbered_sgpr, 52
	.set _ZL19rocblas_sbmv_kernelILb1ELi64ELi16EPKdS1_PdEviiT2_lT3_lllS4_lllS3_lT4_llli.num_named_barrier, 0
	.set _ZL19rocblas_sbmv_kernelILb1ELi64ELi16EPKdS1_PdEviiT2_lT3_lllS4_lllS3_lT4_llli.private_seg_size, 0
	.set _ZL19rocblas_sbmv_kernelILb1ELi64ELi16EPKdS1_PdEviiT2_lT3_lllS4_lllS3_lT4_llli.uses_vcc, 1
	.set _ZL19rocblas_sbmv_kernelILb1ELi64ELi16EPKdS1_PdEviiT2_lT3_lllS4_lllS3_lT4_llli.uses_flat_scratch, 0
	.set _ZL19rocblas_sbmv_kernelILb1ELi64ELi16EPKdS1_PdEviiT2_lT3_lllS4_lllS3_lT4_llli.has_dyn_sized_stack, 0
	.set _ZL19rocblas_sbmv_kernelILb1ELi64ELi16EPKdS1_PdEviiT2_lT3_lllS4_lllS3_lT4_llli.has_recursion, 0
	.set _ZL19rocblas_sbmv_kernelILb1ELi64ELi16EPKdS1_PdEviiT2_lT3_lllS4_lllS3_lT4_llli.has_indirect_call, 0
	.section	.AMDGPU.csdata,"",@progbits
; Kernel info:
; codeLenInByte = 1356
; TotalNumSgprs: 54
; NumVgprs: 36
; ScratchSize: 0
; MemoryBound: 1
; FloatMode: 240
; IeeeMode: 1
; LDSByteSize: 8192 bytes/workgroup (compile time only)
; SGPRBlocks: 0
; VGPRBlocks: 2
; NumSGPRsForWavesPerEU: 54
; NumVGPRsForWavesPerEU: 36
; NamedBarCnt: 0
; Occupancy: 16
; WaveLimiterHint : 1
; COMPUTE_PGM_RSRC2:SCRATCH_EN: 0
; COMPUTE_PGM_RSRC2:USER_SGPR: 2
; COMPUTE_PGM_RSRC2:TRAP_HANDLER: 0
; COMPUTE_PGM_RSRC2:TGID_X_EN: 1
; COMPUTE_PGM_RSRC2:TGID_Y_EN: 0
; COMPUTE_PGM_RSRC2:TGID_Z_EN: 1
; COMPUTE_PGM_RSRC2:TIDIG_COMP_CNT: 1
	.section	.text._ZL19rocblas_sbmv_kernelILb0ELi64ELi16EPKdS1_PdEviiT2_lT3_lllS4_lllS3_lT4_llli,"axG",@progbits,_ZL19rocblas_sbmv_kernelILb0ELi64ELi16EPKdS1_PdEviiT2_lT3_lllS4_lllS3_lT4_llli,comdat
	.globl	_ZL19rocblas_sbmv_kernelILb0ELi64ELi16EPKdS1_PdEviiT2_lT3_lllS4_lllS3_lT4_llli ; -- Begin function _ZL19rocblas_sbmv_kernelILb0ELi64ELi16EPKdS1_PdEviiT2_lT3_lllS4_lllS3_lT4_llli
	.p2align	8
	.type	_ZL19rocblas_sbmv_kernelILb0ELi64ELi16EPKdS1_PdEviiT2_lT3_lllS4_lllS3_lT4_llli,@function
_ZL19rocblas_sbmv_kernelILb0ELi64ELi16EPKdS1_PdEviiT2_lT3_lllS4_lllS3_lT4_llli: ; @_ZL19rocblas_sbmv_kernelILb0ELi64ELi16EPKdS1_PdEviiT2_lT3_lllS4_lllS3_lT4_llli
; %bb.0:
	s_load_b64 s[2:3], s[0:1], 0x9c
	s_wait_kmcnt 0x0
	s_lshr_b32 s4, s2, 16
	s_and_b32 s2, s2, 0xffff
	s_and_b32 s3, s3, 0xffff
	s_mul_i32 s4, s4, s2
	s_delay_alu instid0(SALU_CYCLE_1) | instskip(NEXT) | instid1(SALU_CYCLE_1)
	s_mul_i32 s4, s4, s3
	s_cmp_lg_u32 s4, 0x400
	s_cbranch_scc1 .LBB5_34
; %bb.1:
	s_load_b32 s26, s[0:1], 0x88
	s_bfe_u32 s3, ttmp6, 0x40014
	s_lshr_b32 s4, ttmp7, 16
	s_add_co_i32 s3, s3, 1
	s_bfe_u32 s6, ttmp6, 0x40008
	s_mul_i32 s5, s4, s3
	s_getreg_b32 s3, hwreg(HW_REG_IB_STS2, 6, 4)
	s_add_co_i32 s6, s6, s5
	s_cmp_eq_u32 s3, 0
	s_mov_b32 s21, 0
	s_cselect_b32 s20, s4, s6
	s_wait_kmcnt 0x0
	s_cmp_ge_u32 s20, s26
	s_cbranch_scc1 .LBB5_34
; %bb.2:
	s_clause 0x1
	s_load_b512 s[4:19], s[0:1], 0x8
	s_load_b512 s[36:51], s[0:1], 0x48
	s_bfe_u32 s22, ttmp6, 0x4000c
	v_and_b32_e32 v1, 0x3ff, v0
	v_bfe_u32 v0, v0, 10, 10
	s_add_co_i32 s22, s22, 1
	s_and_b32 s23, ttmp6, 15
	s_mul_i32 s22, ttmp9, s22
	s_delay_alu instid0(VALU_DEP_1) | instskip(SKIP_1) | instid1(VALU_DEP_1)
	v_mad_u32_u24 v1, v0, s2, v1
	s_add_co_i32 s2, s23, s22
	v_cmp_gt_u32_e32 vcc_lo, 64, v1
	s_wait_kmcnt 0x0
	s_lshl_b64 s[22:23], s[10:11], 3
	s_lshl_b64 s[24:25], s[18:19], 3
	;; [unrolled: 1-line block ×3, first 2 shown]
	s_cmp_eq_u32 s3, 0
	s_load_b64 s[10:11], s[0:1], 0x0
	s_cselect_b32 s2, ttmp9, s2
	s_add_nc_u64 s[18:19], s[8:9], s[22:23]
	s_wait_xcnt 0x0
	s_lshl_b32 s0, s2, 6
	s_delay_alu instid0(SALU_CYCLE_1) | instskip(SKIP_4) | instid1(VALU_DEP_1)
	v_dual_lshrrev_b32 v0, 6, v1 :: v_dual_add_nc_u32 v8, s0, v1
	v_and_or_b32 v2, v1, 63, s0
	s_lshl_b64 s[0:1], s[12:13], 3
	s_lshl_b64 s[2:3], s[12:13], 7
	s_add_nc_u64 s[0:1], s[0:1], -8
	v_dual_ashrrev_i32 v9, 31, v8 :: v_dual_ashrrev_i32 v3, 31, v2
	v_mad_nc_u64_u32 v[10:11], v0, s0, s[22:23]
	v_sub_nc_u32_e32 v13, v2, v0
	s_add_nc_u64 s[16:17], s[16:17], s[24:25]
	s_delay_alu instid0(VALU_DEP_3)
	v_mul_u64_e32 v[4:5], s[48:49], v[8:9]
	v_mul_u64_e32 v[6:7], s[12:13], v[2:3]
	v_mov_b32_e32 v9, 0
	s_mov_b64 s[12:13], 0xffffffffffffff80
	s_add_nc_u64 s[22:23], s[44:45], s[28:29]
	s_wait_kmcnt 0x0
	v_cmp_gt_i32_e64 s0, s10, v8
	s_add_nc_u64 s[12:13], s[2:3], s[12:13]
	v_sub_nc_u32_e32 v12, 0, v2
	v_mad_u32 v11, v0, s1, v11
	v_cmp_gt_i32_e64 s1, s10, v2
	s_and_b32 s27, vcc_lo, s0
	v_cmp_gt_i32_e64 s0, s10, v0
	v_lshl_add_u64 v[10:11], v[2:3], 3, v[10:11]
	v_dual_lshlrev_b32 v3, 3, v1 :: v_dual_mov_b32 v1, v9
	s_delay_alu instid0(VALU_DEP_2)
	v_add_nc_u64_e32 v[10:11], s[8:9], v[10:11]
	s_lshl_b64 s[8:9], s[14:15], 3
	s_branch .LBB5_5
.LBB5_3:                                ;   in Loop: Header=BB5_5 Depth=1
	s_wait_xcnt 0x0
	s_or_b32 exec_lo, exec_lo, s24
.LBB5_4:                                ;   in Loop: Header=BB5_5 Depth=1
	s_add_co_i32 s20, s20, 0x10000
	s_delay_alu instid0(SALU_CYCLE_1)
	s_cmp_lt_u32 s20, s26
	s_cbranch_scc0 .LBB5_34
.LBB5_5:                                ; =>This Loop Header: Depth=1
                                        ;     Child Loop BB5_17 Depth 2
	s_mul_u64 s[2:3], s[6:7], s[20:21]
	s_wait_xcnt 0x0
	s_mul_u64 s[24:25], s[42:43], s[20:21]
	s_lshl_b64 s[2:3], s[2:3], 3
	s_lshl_b64 s[24:25], s[24:25], 3
	s_add_nc_u64 s[2:3], s[4:5], s[2:3]
	s_add_nc_u64 s[24:25], s[40:41], s[24:25]
	s_clause 0x1
	global_load_b64 v[16:17], v9, s[2:3]
	global_load_b64 v[14:15], v9, s[24:25]
	s_wait_loadcnt 0x1
	v_cmp_eq_f64_e32 vcc_lo, 0, v[16:17]
	s_wait_loadcnt 0x0
	s_wait_xcnt 0x1
	v_cmp_eq_f64_e64 s2, 1.0, v[14:15]
	s_and_b32 s2, vcc_lo, s2
	s_delay_alu instid0(SALU_CYCLE_1)
	s_and_b32 vcc_lo, exec_lo, s2
	s_cbranch_vccnz .LBB5_4
; %bb.6:                                ;   in Loop: Header=BB5_5 Depth=1
	v_cmp_neq_f64_e32 vcc_lo, 0, v[16:17]
	s_mul_u64 s[2:3], s[50:51], s[20:21]
	s_delay_alu instid0(SALU_CYCLE_1) | instskip(NEXT) | instid1(SALU_CYCLE_1)
	s_lshl_b64 s[2:3], s[2:3], 3
	s_add_nc_u64 s[2:3], s[22:23], s[2:3]
	s_cbranch_vccnz .LBB5_11
; %bb.7:                                ;   in Loop: Header=BB5_5 Depth=1
	s_wait_xcnt 0x0
	s_mov_b32 s24, 0
	s_mov_b32 s28, 0
                                        ; implicit-def: $vgpr18_vgpr19
	s_and_saveexec_b32 s25, s27
	s_cbranch_execz .LBB5_12
; %bb.8:                                ;   in Loop: Header=BB5_5 Depth=1
	v_cmp_eq_f64_e32 vcc_lo, 0, v[14:15]
	v_mov_b64_e32 v[18:19], 0
	s_cbranch_vccnz .LBB5_10
; %bb.9:                                ;   in Loop: Header=BB5_5 Depth=1
	v_lshl_add_u64 v[18:19], v[4:5], 3, s[2:3]
	global_load_b64 v[18:19], v[18:19], off
	s_wait_loadcnt 0x0
	s_wait_xcnt 0x0
	v_mul_f64_e32 v[18:19], v[14:15], v[18:19]
.LBB5_10:                               ;   in Loop: Header=BB5_5 Depth=1
	s_mov_b32 s28, exec_lo
	s_or_b32 exec_lo, exec_lo, s25
	s_delay_alu instid0(SALU_CYCLE_1)
	s_and_b32 vcc_lo, exec_lo, s24
	s_cbranch_vccnz .LBB5_13
	s_branch .LBB5_32
.LBB5_11:                               ;   in Loop: Header=BB5_5 Depth=1
	s_wait_xcnt 0x0
	s_mov_b32 s28, 0
                                        ; implicit-def: $vgpr18_vgpr19
	s_cbranch_execnz .LBB5_13
	s_branch .LBB5_32
.LBB5_12:                               ;   in Loop: Header=BB5_5 Depth=1
	s_or_b32 exec_lo, exec_lo, s25
	s_delay_alu instid0(SALU_CYCLE_1)
	s_and_b32 vcc_lo, exec_lo, s24
	s_cbranch_vccz .LBB5_32
.LBB5_13:                               ;   in Loop: Header=BB5_5 Depth=1
	v_mov_b64_e32 v[18:19], 0
	s_and_saveexec_b32 s29, s0
	s_cbranch_execz .LBB5_27
; %bb.14:                               ;   in Loop: Header=BB5_5 Depth=1
	v_mad_nc_u64_u32 v[20:21], s8, s20, v[10:11]
	s_mul_u64 s[24:25], s[14:15], s[20:21]
	v_mov_b64_e32 v[18:19], 0
	s_lshl_b64 s[24:25], s[24:25], 3
	v_mov_b64_e32 v[24:25], v[0:1]
	s_add_nc_u64 s[24:25], s[18:19], s[24:25]
	s_mul_u64 s[30:31], s[38:39], s[20:21]
	v_lshl_add_u64 v[22:23], v[6:7], 3, s[24:25]
	v_dual_mov_b32 v30, v13 :: v_dual_mov_b32 v8, v0
	s_lshl_b64 s[30:31], s[30:31], 3
	v_mad_u32 v21, s9, s20, v21
	s_add_nc_u64 s[24:25], s[16:17], s[30:31]
	s_mov_b32 s30, 0
	s_branch .LBB5_17
.LBB5_15:                               ;   in Loop: Header=BB5_17 Depth=2
	s_wait_xcnt 0x0
	s_or_b32 exec_lo, exec_lo, s34
.LBB5_16:                               ;   in Loop: Header=BB5_17 Depth=2
	s_delay_alu instid0(SALU_CYCLE_1) | instskip(SKIP_1) | instid1(VALU_DEP_2)
	s_or_b32 exec_lo, exec_lo, s31
	v_add_nc_u64_e32 v[24:25], 16, v[24:25]
	v_add_nc_u64_e32 v[20:21], s[12:13], v[20:21]
	v_dual_add_nc_u32 v8, 16, v8 :: v_dual_add_nc_u32 v30, -16, v30
	s_delay_alu instid0(VALU_DEP_3) | instskip(SKIP_1) | instid1(SALU_CYCLE_1)
	v_cmp_le_i32_e32 vcc_lo, s10, v24
	s_or_b32 s30, vcc_lo, s30
	s_and_not1_b32 exec_lo, exec_lo, s30
	s_cbranch_execz .LBB5_26
.LBB5_17:                               ;   Parent Loop BB5_5 Depth=1
                                        ; =>  This Inner Loop Header: Depth=2
	s_and_saveexec_b32 s31, s1
	s_cbranch_execz .LBB5_16
; %bb.18:                               ;   in Loop: Header=BB5_17 Depth=2
	s_mov_b32 s33, 0
	s_mov_b32 s34, exec_lo
	v_cmpx_ge_i32_e64 v2, v24
	s_xor_b32 s34, exec_lo, s34
; %bb.19:                               ;   in Loop: Header=BB5_17 Depth=2
	v_cmp_ge_i32_e32 vcc_lo, s11, v30
	s_and_b32 s33, vcc_lo, exec_lo
; %bb.20:                               ;   in Loop: Header=BB5_17 Depth=2
	s_or_saveexec_b32 s34, s34
	v_mov_b64_e32 v[26:27], v[20:21]
	v_mov_b64_e32 v[28:29], v[24:25]
	s_xor_b32 exec_lo, exec_lo, s34
	s_cbranch_execz .LBB5_24
; %bb.21:                               ;   in Loop: Header=BB5_17 Depth=2
	v_add_nc_u32_e32 v26, v12, v24
	s_mov_b32 s44, s33
                                        ; implicit-def: $vgpr28_vgpr29
	s_delay_alu instid0(VALU_DEP_1)
	v_cmp_ge_i32_e32 vcc_lo, s11, v26
                                        ; implicit-def: $vgpr26_vgpr27
	s_and_saveexec_b32 s35, vcc_lo
; %bb.22:                               ;   in Loop: Header=BB5_17 Depth=2
	v_sub_nc_u32_e32 v26, v8, v2
	v_mov_b64_e32 v[28:29], v[8:9]
	s_or_b32 s44, s33, exec_lo
	s_delay_alu instid0(VALU_DEP_2) | instskip(NEXT) | instid1(VALU_DEP_1)
	v_ashrrev_i32_e32 v27, 31, v26
	v_lshl_add_u64 v[26:27], v[26:27], 3, v[22:23]
; %bb.23:                               ;   in Loop: Header=BB5_17 Depth=2
	s_or_b32 exec_lo, exec_lo, s35
	s_delay_alu instid0(SALU_CYCLE_1) | instskip(SKIP_1) | instid1(SALU_CYCLE_1)
	s_and_not1_b32 s33, s33, exec_lo
	s_and_b32 s35, s44, exec_lo
	s_or_b32 s33, s33, s35
.LBB5_24:                               ;   in Loop: Header=BB5_17 Depth=2
	s_or_b32 exec_lo, exec_lo, s34
	s_and_saveexec_b32 s34, s33
	s_cbranch_execz .LBB5_15
; %bb.25:                               ;   in Loop: Header=BB5_17 Depth=2
	s_delay_alu instid0(VALU_DEP_1) | instskip(NEXT) | instid1(VALU_DEP_1)
	v_mul_u64_e32 v[28:29], s[36:37], v[28:29]
	v_lshl_add_u64 v[28:29], v[28:29], 3, s[24:25]
	global_load_b64 v[32:33], v[26:27], off
	global_load_b64 v[34:35], v[28:29], off
	s_wait_loadcnt 0x0
	v_fmac_f64_e32 v[18:19], v[32:33], v[34:35]
	s_branch .LBB5_15
.LBB5_26:                               ;   in Loop: Header=BB5_5 Depth=1
	s_or_b32 exec_lo, exec_lo, s30
.LBB5_27:                               ;   in Loop: Header=BB5_5 Depth=1
	s_delay_alu instid0(SALU_CYCLE_1)
	s_or_b32 exec_lo, exec_lo, s29
	ds_store_b64 v3, v[18:19]
	s_wait_dscnt 0x0
	s_barrier_signal -1
	s_barrier_wait -1
                                        ; implicit-def: $vgpr18_vgpr19
	s_and_saveexec_b32 s24, s27
	s_cbranch_execz .LBB5_31
; %bb.28:                               ;   in Loop: Header=BB5_5 Depth=1
	ds_load_2addr_stride64_b64 v[18:21], v3 offset1:1
	ds_load_2addr_stride64_b64 v[22:25], v3 offset0:2 offset1:3
	v_cmp_eq_f64_e32 vcc_lo, 0, v[14:15]
	s_wait_dscnt 0x1
	v_add_f64_e32 v[18:19], v[18:19], v[20:21]
	s_and_b32 vcc_lo, exec_lo, vcc_lo
	s_wait_dscnt 0x0
	s_delay_alu instid0(VALU_DEP_1) | instskip(NEXT) | instid1(VALU_DEP_1)
	v_add_f64_e32 v[18:19], v[22:23], v[18:19]
	v_add_f64_e32 v[26:27], v[24:25], v[18:19]
	ds_load_2addr_stride64_b64 v[18:21], v3 offset0:4 offset1:5
	ds_load_2addr_stride64_b64 v[22:25], v3 offset0:6 offset1:7
	s_wait_dscnt 0x1
	v_add_f64_e32 v[18:19], v[18:19], v[26:27]
	s_delay_alu instid0(VALU_DEP_1) | instskip(SKIP_1) | instid1(VALU_DEP_1)
	v_add_f64_e32 v[18:19], v[20:21], v[18:19]
	s_wait_dscnt 0x0
	v_add_f64_e32 v[18:19], v[22:23], v[18:19]
	s_delay_alu instid0(VALU_DEP_1) | instskip(SKIP_4) | instid1(VALU_DEP_1)
	v_add_f64_e32 v[26:27], v[24:25], v[18:19]
	ds_load_2addr_stride64_b64 v[18:21], v3 offset0:8 offset1:9
	ds_load_2addr_stride64_b64 v[22:25], v3 offset0:10 offset1:11
	s_wait_dscnt 0x1
	v_add_f64_e32 v[18:19], v[18:19], v[26:27]
	v_add_f64_e32 v[18:19], v[20:21], v[18:19]
	s_wait_dscnt 0x0
	s_delay_alu instid0(VALU_DEP_1) | instskip(NEXT) | instid1(VALU_DEP_1)
	v_add_f64_e32 v[18:19], v[22:23], v[18:19]
	v_add_f64_e32 v[26:27], v[24:25], v[18:19]
	ds_load_2addr_stride64_b64 v[18:21], v3 offset0:12 offset1:13
	ds_load_2addr_stride64_b64 v[22:25], v3 offset0:14 offset1:15
	s_wait_dscnt 0x1
	v_add_f64_e32 v[18:19], v[18:19], v[26:27]
	s_delay_alu instid0(VALU_DEP_1) | instskip(SKIP_1) | instid1(VALU_DEP_1)
	v_add_f64_e32 v[18:19], v[20:21], v[18:19]
	s_wait_dscnt 0x0
	v_add_f64_e32 v[18:19], v[22:23], v[18:19]
	s_delay_alu instid0(VALU_DEP_1) | instskip(NEXT) | instid1(VALU_DEP_1)
	v_add_f64_e32 v[20:21], v[24:25], v[18:19]
	v_mul_f64_e32 v[18:19], v[16:17], v[20:21]
	ds_store_b64 v3, v[20:21]
	s_cbranch_vccnz .LBB5_30
; %bb.29:                               ;   in Loop: Header=BB5_5 Depth=1
	v_lshl_add_u64 v[16:17], v[4:5], 3, s[2:3]
	global_load_b64 v[16:17], v[16:17], off
	s_wait_loadcnt 0x0
	v_fmac_f64_e32 v[18:19], v[14:15], v[16:17]
.LBB5_30:                               ;   in Loop: Header=BB5_5 Depth=1
	s_or_b32 s28, s28, exec_lo
.LBB5_31:                               ;   in Loop: Header=BB5_5 Depth=1
	s_wait_xcnt 0x0
	s_or_b32 exec_lo, exec_lo, s24
.LBB5_32:                               ;   in Loop: Header=BB5_5 Depth=1
	s_and_saveexec_b32 s24, s28
	s_cbranch_execz .LBB5_3
; %bb.33:                               ;   in Loop: Header=BB5_5 Depth=1
	v_lshl_add_u64 v[14:15], v[4:5], 3, s[2:3]
	global_store_b64 v[14:15], v[18:19], off
	s_branch .LBB5_3
.LBB5_34:
	s_endpgm
	.section	.rodata,"a",@progbits
	.p2align	6, 0x0
	.amdhsa_kernel _ZL19rocblas_sbmv_kernelILb0ELi64ELi16EPKdS1_PdEviiT2_lT3_lllS4_lllS3_lT4_llli
		.amdhsa_group_segment_fixed_size 8192
		.amdhsa_private_segment_fixed_size 0
		.amdhsa_kernarg_size 400
		.amdhsa_user_sgpr_count 2
		.amdhsa_user_sgpr_dispatch_ptr 0
		.amdhsa_user_sgpr_queue_ptr 0
		.amdhsa_user_sgpr_kernarg_segment_ptr 1
		.amdhsa_user_sgpr_dispatch_id 0
		.amdhsa_user_sgpr_kernarg_preload_length 0
		.amdhsa_user_sgpr_kernarg_preload_offset 0
		.amdhsa_user_sgpr_private_segment_size 0
		.amdhsa_wavefront_size32 1
		.amdhsa_uses_dynamic_stack 0
		.amdhsa_enable_private_segment 0
		.amdhsa_system_sgpr_workgroup_id_x 1
		.amdhsa_system_sgpr_workgroup_id_y 0
		.amdhsa_system_sgpr_workgroup_id_z 1
		.amdhsa_system_sgpr_workgroup_info 0
		.amdhsa_system_vgpr_workitem_id 1
		.amdhsa_next_free_vgpr 36
		.amdhsa_next_free_sgpr 52
		.amdhsa_named_barrier_count 0
		.amdhsa_reserve_vcc 1
		.amdhsa_float_round_mode_32 0
		.amdhsa_float_round_mode_16_64 0
		.amdhsa_float_denorm_mode_32 3
		.amdhsa_float_denorm_mode_16_64 3
		.amdhsa_fp16_overflow 0
		.amdhsa_memory_ordered 1
		.amdhsa_forward_progress 1
		.amdhsa_inst_pref_size 11
		.amdhsa_round_robin_scheduling 0
		.amdhsa_exception_fp_ieee_invalid_op 0
		.amdhsa_exception_fp_denorm_src 0
		.amdhsa_exception_fp_ieee_div_zero 0
		.amdhsa_exception_fp_ieee_overflow 0
		.amdhsa_exception_fp_ieee_underflow 0
		.amdhsa_exception_fp_ieee_inexact 0
		.amdhsa_exception_int_div_zero 0
	.end_amdhsa_kernel
	.section	.text._ZL19rocblas_sbmv_kernelILb0ELi64ELi16EPKdS1_PdEviiT2_lT3_lllS4_lllS3_lT4_llli,"axG",@progbits,_ZL19rocblas_sbmv_kernelILb0ELi64ELi16EPKdS1_PdEviiT2_lT3_lllS4_lllS3_lT4_llli,comdat
.Lfunc_end5:
	.size	_ZL19rocblas_sbmv_kernelILb0ELi64ELi16EPKdS1_PdEviiT2_lT3_lllS4_lllS3_lT4_llli, .Lfunc_end5-_ZL19rocblas_sbmv_kernelILb0ELi64ELi16EPKdS1_PdEviiT2_lT3_lllS4_lllS3_lT4_llli
                                        ; -- End function
	.set _ZL19rocblas_sbmv_kernelILb0ELi64ELi16EPKdS1_PdEviiT2_lT3_lllS4_lllS3_lT4_llli.num_vgpr, 36
	.set _ZL19rocblas_sbmv_kernelILb0ELi64ELi16EPKdS1_PdEviiT2_lT3_lllS4_lllS3_lT4_llli.num_agpr, 0
	.set _ZL19rocblas_sbmv_kernelILb0ELi64ELi16EPKdS1_PdEviiT2_lT3_lllS4_lllS3_lT4_llli.numbered_sgpr, 52
	.set _ZL19rocblas_sbmv_kernelILb0ELi64ELi16EPKdS1_PdEviiT2_lT3_lllS4_lllS3_lT4_llli.num_named_barrier, 0
	.set _ZL19rocblas_sbmv_kernelILb0ELi64ELi16EPKdS1_PdEviiT2_lT3_lllS4_lllS3_lT4_llli.private_seg_size, 0
	.set _ZL19rocblas_sbmv_kernelILb0ELi64ELi16EPKdS1_PdEviiT2_lT3_lllS4_lllS3_lT4_llli.uses_vcc, 1
	.set _ZL19rocblas_sbmv_kernelILb0ELi64ELi16EPKdS1_PdEviiT2_lT3_lllS4_lllS3_lT4_llli.uses_flat_scratch, 0
	.set _ZL19rocblas_sbmv_kernelILb0ELi64ELi16EPKdS1_PdEviiT2_lT3_lllS4_lllS3_lT4_llli.has_dyn_sized_stack, 0
	.set _ZL19rocblas_sbmv_kernelILb0ELi64ELi16EPKdS1_PdEviiT2_lT3_lllS4_lllS3_lT4_llli.has_recursion, 0
	.set _ZL19rocblas_sbmv_kernelILb0ELi64ELi16EPKdS1_PdEviiT2_lT3_lllS4_lllS3_lT4_llli.has_indirect_call, 0
	.section	.AMDGPU.csdata,"",@progbits
; Kernel info:
; codeLenInByte = 1340
; TotalNumSgprs: 54
; NumVgprs: 36
; ScratchSize: 0
; MemoryBound: 1
; FloatMode: 240
; IeeeMode: 1
; LDSByteSize: 8192 bytes/workgroup (compile time only)
; SGPRBlocks: 0
; VGPRBlocks: 2
; NumSGPRsForWavesPerEU: 54
; NumVGPRsForWavesPerEU: 36
; NamedBarCnt: 0
; Occupancy: 16
; WaveLimiterHint : 1
; COMPUTE_PGM_RSRC2:SCRATCH_EN: 0
; COMPUTE_PGM_RSRC2:USER_SGPR: 2
; COMPUTE_PGM_RSRC2:TRAP_HANDLER: 0
; COMPUTE_PGM_RSRC2:TGID_X_EN: 1
; COMPUTE_PGM_RSRC2:TGID_Y_EN: 0
; COMPUTE_PGM_RSRC2:TGID_Z_EN: 1
; COMPUTE_PGM_RSRC2:TIDIG_COMP_CNT: 1
	.section	.text._ZL19rocblas_sbmv_kernelILb1ELi64ELi16EdPKdPdEviiT2_lT3_lllS4_lllS3_lT4_llli,"axG",@progbits,_ZL19rocblas_sbmv_kernelILb1ELi64ELi16EdPKdPdEviiT2_lT3_lllS4_lllS3_lT4_llli,comdat
	.globl	_ZL19rocblas_sbmv_kernelILb1ELi64ELi16EdPKdPdEviiT2_lT3_lllS4_lllS3_lT4_llli ; -- Begin function _ZL19rocblas_sbmv_kernelILb1ELi64ELi16EdPKdPdEviiT2_lT3_lllS4_lllS3_lT4_llli
	.p2align	8
	.type	_ZL19rocblas_sbmv_kernelILb1ELi64ELi16EdPKdPdEviiT2_lT3_lllS4_lllS3_lT4_llli,@function
_ZL19rocblas_sbmv_kernelILb1ELi64ELi16EdPKdPdEviiT2_lT3_lllS4_lllS3_lT4_llli: ; @_ZL19rocblas_sbmv_kernelILb1ELi64ELi16EdPKdPdEviiT2_lT3_lllS4_lllS3_lT4_llli
; %bb.0:
	s_load_b64 s[2:3], s[0:1], 0x9c
	s_wait_kmcnt 0x0
	s_lshr_b32 s4, s2, 16
	s_and_b32 s2, s2, 0xffff
	s_and_b32 s3, s3, 0xffff
	s_mul_i32 s4, s4, s2
	s_delay_alu instid0(SALU_CYCLE_1) | instskip(NEXT) | instid1(SALU_CYCLE_1)
	s_mul_i32 s4, s4, s3
	s_cmp_lg_u32 s4, 0x400
	s_cbranch_scc1 .LBB6_35
; %bb.1:
	s_load_b32 s33, s[0:1], 0x88
	s_bfe_u32 s3, ttmp6, 0x40014
	s_lshr_b32 s4, ttmp7, 16
	s_add_co_i32 s3, s3, 1
	s_bfe_u32 s6, ttmp6, 0x40008
	s_mul_i32 s5, s4, s3
	s_getreg_b32 s3, hwreg(HW_REG_IB_STS2, 6, 4)
	s_add_co_i32 s6, s6, s5
	s_cmp_eq_u32 s3, 0
	s_mov_b32 s35, 0
	s_cselect_b32 s34, s4, s6
	s_wait_kmcnt 0x0
	s_cmp_ge_u32 s34, s33
	s_cbranch_scc1 .LBB6_35
; %bb.2:
	s_clause 0x3
	s_load_b128 s[28:31], s[0:1], 0x0
	s_load_b64 s[36:37], s[0:1], 0x58
	s_load_b512 s[4:19], s[0:1], 0x18
	s_load_b256 s[20:27], s[0:1], 0x68
	s_wait_xcnt 0x0
	s_bfe_u32 s0, ttmp6, 0x4000c
	v_and_b32_e32 v2, 0x3ff, v0
	v_bfe_u32 v0, v0, 10, 10
	s_add_co_i32 s0, s0, 1
	s_and_b32 s1, ttmp6, 15
	s_mul_i32 s0, ttmp9, s0
	s_delay_alu instid0(VALU_DEP_1) | instskip(SKIP_1) | instid1(VALU_DEP_1)
	v_mad_u32_u24 v0, v0, s2, v2
	s_add_co_i32 s2, s1, s0
	v_dual_mov_b32 v1, 0 :: v_dual_lshrrev_b32 v2, 6, v0
	s_delay_alu instid0(VALU_DEP_1)
	v_dual_mov_b32 v3, v1 :: v_dual_bitop2_b32 v14, 63, v0 bitop3:0x40
	v_cmp_gt_u32_e32 vcc_lo, 64, v0
	s_wait_kmcnt 0x0
	v_cmp_neq_f64_e64 s38, s[30:31], 0
	v_cmp_neq_f64_e64 s39, s[36:37], 1.0
	s_lshl_b64 s[0:1], s[6:7], 3
	s_lshl_b64 s[6:7], s[14:15], 3
	;; [unrolled: 1-line block ×3, first 2 shown]
	v_mul_u64_e32 v[10:11], s[8:9], v[2:3]
	v_cmp_eq_f64_e64 s23, s[30:31], 0
	s_add_nc_u64 s[4:5], s[4:5], s[0:1]
	v_cmp_gt_i32_e64 s0, s28, v2
	s_add_nc_u64 s[6:7], s[12:13], s[6:7]
	s_add_nc_u64 s[12:13], s[20:21], s[14:15]
	s_or_b32 s22, s38, s39
	s_cmp_eq_u32 s3, 0
	s_cselect_b32 s2, ttmp9, s2
	v_lshl_add_u64 v[10:11], v[10:11], 3, s[4:5]
	s_lshl_b32 s3, s2, 6
	s_delay_alu instid0(SALU_CYCLE_1) | instskip(NEXT) | instid1(VALU_DEP_1)
	v_dual_add_nc_u32 v12, s3, v0 :: v_dual_bitop2_b32 v4, s3, v14 bitop3:0x54
	v_ashrrev_i32_e32 v13, 31, v12
	v_cmp_gt_i32_e64 s2, s28, v12
	s_delay_alu instid0(VALU_DEP_3) | instskip(NEXT) | instid1(VALU_DEP_3)
	v_cmp_gt_i32_e64 s1, s28, v4
	v_mul_u64_e32 v[6:7], s[24:25], v[12:13]
	v_add3_u32 v12, s29, s3, v14
	v_ashrrev_i32_e32 v5, 31, v4
	v_cmp_neq_f64_e64 s24, s[36:37], 0
	v_sub_nc_u32_e32 v14, s29, v14
	s_and_b32 s25, vcc_lo, s2
	v_sub_nc_u32_e32 v13, v12, v2
	v_mul_u64_e32 v[8:9], s[8:9], v[4:5]
	v_lshlrev_b32_e32 v5, 3, v0
	v_subrev_nc_u32_e32 v12, s3, v14
	s_lshl_b64 s[2:3], s[10:11], 3
	s_lshl_b64 s[8:9], s[8:9], 7
	s_branch .LBB6_5
.LBB6_3:                                ;   in Loop: Header=BB6_5 Depth=1
	s_wait_xcnt 0x0
	s_or_b32 exec_lo, exec_lo, s20
.LBB6_4:                                ;   in Loop: Header=BB6_5 Depth=1
	s_add_co_i32 s34, s34, 0x10000
	s_delay_alu instid0(SALU_CYCLE_1)
	s_cmp_lt_u32 s34, s33
	s_cbranch_scc0 .LBB6_35
.LBB6_5:                                ; =>This Loop Header: Depth=1
                                        ;     Child Loop BB6_18 Depth 2
	s_and_not1_b32 vcc_lo, exec_lo, s22
	s_cbranch_vccnz .LBB6_4
; %bb.6:                                ;   in Loop: Header=BB6_5 Depth=1
	s_mul_u64 s[14:15], s[26:27], s[34:35]
	s_and_not1_b32 vcc_lo, exec_lo, s23
	s_lshl_b64 s[14:15], s[14:15], 3
	s_delay_alu instid0(SALU_CYCLE_1)
	s_add_nc_u64 s[14:15], s[12:13], s[14:15]
	s_cbranch_vccnz .LBB6_10
; %bb.7:                                ;   in Loop: Header=BB6_5 Depth=1
	s_mov_b32 s20, 0
	s_mov_b32 s29, 0
                                        ; implicit-def: $vgpr14_vgpr15
	s_and_saveexec_b32 s21, s25
	s_cbranch_execz .LBB6_11
; %bb.8:                                ;   in Loop: Header=BB6_5 Depth=1
	s_and_not1_b32 vcc_lo, exec_lo, s24
	s_cbranch_vccnz .LBB6_12
; %bb.9:                                ;   in Loop: Header=BB6_5 Depth=1
	v_lshl_add_u64 v[14:15], v[6:7], 3, s[14:15]
	global_load_b64 v[14:15], v[14:15], off
	s_wait_loadcnt 0x0
	s_wait_xcnt 0x0
	v_mul_f64_e32 v[14:15], s[36:37], v[14:15]
	s_branch .LBB6_13
.LBB6_10:                               ;   in Loop: Header=BB6_5 Depth=1
	s_mov_b32 s29, 0
                                        ; implicit-def: $vgpr14_vgpr15
	s_cbranch_execnz .LBB6_14
	s_branch .LBB6_33
.LBB6_11:                               ;   in Loop: Header=BB6_5 Depth=1
	s_or_b32 exec_lo, exec_lo, s21
	s_delay_alu instid0(SALU_CYCLE_1)
	s_and_b32 vcc_lo, exec_lo, s20
	s_cbranch_vccnz .LBB6_14
	s_branch .LBB6_33
.LBB6_12:                               ;   in Loop: Header=BB6_5 Depth=1
	v_mov_b64_e32 v[14:15], 0
.LBB6_13:                               ;   in Loop: Header=BB6_5 Depth=1
	s_mov_b32 s29, exec_lo
	s_or_b32 exec_lo, exec_lo, s21
	s_delay_alu instid0(SALU_CYCLE_1)
	s_and_b32 vcc_lo, exec_lo, s20
	s_cbranch_vccz .LBB6_33
.LBB6_14:                               ;   in Loop: Header=BB6_5 Depth=1
	v_mov_b64_e32 v[14:15], 0
	s_and_saveexec_b32 s38, s0
	s_cbranch_execz .LBB6_28
; %bb.15:                               ;   in Loop: Header=BB6_5 Depth=1
	v_mad_nc_u64_u32 v[16:17], s2, s34, v[10:11]
	s_mul_u64 s[20:21], s[10:11], s[34:35]
	v_mov_b64_e32 v[14:15], 0
	s_lshl_b64 s[20:21], s[20:21], 3
	v_mov_b64_e32 v[20:21], v[2:3]
	s_add_nc_u64 s[20:21], s[4:5], s[20:21]
	s_mul_u64 s[40:41], s[18:19], s[34:35]
	v_lshl_add_u64 v[18:19], v[8:9], 3, s[20:21]
	v_dual_mov_b32 v0, v13 :: v_dual_mov_b32 v22, v2
	s_lshl_b64 s[40:41], s[40:41], 3
	v_mad_u32 v17, s3, s34, v17
	s_add_nc_u64 s[20:21], s[6:7], s[40:41]
	s_mov_b32 s39, 0
	s_branch .LBB6_18
.LBB6_16:                               ;   in Loop: Header=BB6_18 Depth=2
	s_wait_xcnt 0x0
	s_or_b32 exec_lo, exec_lo, s42
.LBB6_17:                               ;   in Loop: Header=BB6_18 Depth=2
	s_delay_alu instid0(SALU_CYCLE_1) | instskip(SKIP_1) | instid1(VALU_DEP_2)
	s_or_b32 exec_lo, exec_lo, s40
	v_add_nc_u64_e32 v[20:21], 16, v[20:21]
	v_add_nc_u64_e32 v[16:17], s[8:9], v[16:17]
	v_dual_add_nc_u32 v22, 16, v22 :: v_dual_add_nc_u32 v0, -16, v0
	s_delay_alu instid0(VALU_DEP_3) | instskip(SKIP_1) | instid1(SALU_CYCLE_1)
	v_cmp_le_i32_e32 vcc_lo, s28, v20
	s_or_b32 s39, vcc_lo, s39
	s_and_not1_b32 exec_lo, exec_lo, s39
	s_cbranch_execz .LBB6_27
.LBB6_18:                               ;   Parent Loop BB6_5 Depth=1
                                        ; =>  This Inner Loop Header: Depth=2
	s_and_saveexec_b32 s40, s1
	s_cbranch_execz .LBB6_17
; %bb.19:                               ;   in Loop: Header=BB6_18 Depth=2
	s_mov_b32 s41, 0
	s_mov_b32 s42, exec_lo
                                        ; implicit-def: $vgpr24_vgpr25
	v_cmpx_le_i32_e64 v4, v20
	s_xor_b32 s42, exec_lo, s42
	s_cbranch_execnz .LBB6_22
; %bb.20:                               ;   in Loop: Header=BB6_18 Depth=2
	s_or_saveexec_b32 s42, s42
	v_mov_b64_e32 v[26:27], v[20:21]
	s_xor_b32 exec_lo, exec_lo, s42
	s_cbranch_execnz .LBB6_23
.LBB6_21:                               ;   in Loop: Header=BB6_18 Depth=2
	s_or_b32 exec_lo, exec_lo, s42
	s_and_saveexec_b32 s42, s41
	s_cbranch_execz .LBB6_16
	s_branch .LBB6_26
.LBB6_22:                               ;   in Loop: Header=BB6_18 Depth=2
	v_cmp_lt_i32_e32 vcc_lo, -1, v0
	v_lshl_add_u64 v[24:25], v[0:1], 3, v[16:17]
	s_and_b32 s41, vcc_lo, exec_lo
	s_or_saveexec_b32 s42, s42
	v_mov_b64_e32 v[26:27], v[20:21]
	s_xor_b32 exec_lo, exec_lo, s42
	s_cbranch_execz .LBB6_21
.LBB6_23:                               ;   in Loop: Header=BB6_18 Depth=2
	v_add_nc_u32_e32 v28, v12, v20
	s_mov_b32 s44, s41
	s_mov_b32 s43, exec_lo
                                        ; implicit-def: $vgpr24_vgpr25
                                        ; implicit-def: $vgpr26_vgpr27
	s_delay_alu instid0(VALU_DEP_1)
	v_cmpx_lt_i32_e32 -1, v28
; %bb.24:                               ;   in Loop: Header=BB6_18 Depth=2
	v_dual_mov_b32 v29, v1 :: v_dual_mov_b32 v23, v1
	s_or_b32 s44, s41, exec_lo
	s_delay_alu instid0(VALU_DEP_1) | instskip(NEXT) | instid1(VALU_DEP_2)
	v_lshl_add_u64 v[24:25], v[28:29], 3, v[18:19]
	v_mov_b64_e32 v[26:27], v[22:23]
; %bb.25:                               ;   in Loop: Header=BB6_18 Depth=2
	s_or_b32 exec_lo, exec_lo, s43
	s_delay_alu instid0(SALU_CYCLE_1) | instskip(SKIP_1) | instid1(SALU_CYCLE_1)
	s_and_not1_b32 s41, s41, exec_lo
	s_and_b32 s43, s44, exec_lo
	s_or_b32 s41, s41, s43
	s_or_b32 exec_lo, exec_lo, s42
	s_and_saveexec_b32 s42, s41
	s_cbranch_execz .LBB6_16
.LBB6_26:                               ;   in Loop: Header=BB6_18 Depth=2
	v_mul_u64_e32 v[26:27], s[16:17], v[26:27]
	s_delay_alu instid0(VALU_DEP_1)
	v_lshl_add_u64 v[26:27], v[26:27], 3, s[20:21]
	global_load_b64 v[28:29], v[24:25], off
	global_load_b64 v[30:31], v[26:27], off
	s_wait_loadcnt 0x0
	v_fmac_f64_e32 v[14:15], v[28:29], v[30:31]
	s_branch .LBB6_16
.LBB6_27:                               ;   in Loop: Header=BB6_5 Depth=1
	s_or_b32 exec_lo, exec_lo, s39
.LBB6_28:                               ;   in Loop: Header=BB6_5 Depth=1
	s_delay_alu instid0(SALU_CYCLE_1)
	s_or_b32 exec_lo, exec_lo, s38
	ds_store_b64 v5, v[14:15]
	s_wait_dscnt 0x0
	s_barrier_signal -1
	s_barrier_wait -1
                                        ; implicit-def: $vgpr14_vgpr15
	s_and_saveexec_b32 s20, s25
	s_cbranch_execz .LBB6_32
; %bb.29:                               ;   in Loop: Header=BB6_5 Depth=1
	ds_load_2addr_stride64_b64 v[14:17], v5 offset1:1
	ds_load_2addr_stride64_b64 v[18:21], v5 offset0:2 offset1:3
	s_and_not1_b32 vcc_lo, exec_lo, s24
	s_wait_dscnt 0x1
	v_add_f64_e32 v[14:15], v[14:15], v[16:17]
	s_wait_dscnt 0x0
	s_delay_alu instid0(VALU_DEP_1) | instskip(NEXT) | instid1(VALU_DEP_1)
	v_add_f64_e32 v[14:15], v[18:19], v[14:15]
	v_add_f64_e32 v[22:23], v[20:21], v[14:15]
	ds_load_2addr_stride64_b64 v[14:17], v5 offset0:4 offset1:5
	ds_load_2addr_stride64_b64 v[18:21], v5 offset0:6 offset1:7
	s_wait_dscnt 0x1
	v_add_f64_e32 v[14:15], v[14:15], v[22:23]
	s_delay_alu instid0(VALU_DEP_1) | instskip(SKIP_1) | instid1(VALU_DEP_1)
	v_add_f64_e32 v[14:15], v[16:17], v[14:15]
	s_wait_dscnt 0x0
	v_add_f64_e32 v[14:15], v[18:19], v[14:15]
	s_delay_alu instid0(VALU_DEP_1) | instskip(SKIP_4) | instid1(VALU_DEP_1)
	v_add_f64_e32 v[22:23], v[20:21], v[14:15]
	ds_load_2addr_stride64_b64 v[14:17], v5 offset0:8 offset1:9
	ds_load_2addr_stride64_b64 v[18:21], v5 offset0:10 offset1:11
	s_wait_dscnt 0x1
	v_add_f64_e32 v[14:15], v[14:15], v[22:23]
	v_add_f64_e32 v[14:15], v[16:17], v[14:15]
	s_wait_dscnt 0x0
	s_delay_alu instid0(VALU_DEP_1) | instskip(NEXT) | instid1(VALU_DEP_1)
	v_add_f64_e32 v[14:15], v[18:19], v[14:15]
	v_add_f64_e32 v[22:23], v[20:21], v[14:15]
	ds_load_2addr_stride64_b64 v[14:17], v5 offset0:12 offset1:13
	ds_load_2addr_stride64_b64 v[18:21], v5 offset0:14 offset1:15
	s_wait_dscnt 0x1
	v_add_f64_e32 v[14:15], v[14:15], v[22:23]
	s_delay_alu instid0(VALU_DEP_1) | instskip(SKIP_1) | instid1(VALU_DEP_1)
	v_add_f64_e32 v[14:15], v[16:17], v[14:15]
	s_wait_dscnt 0x0
	v_add_f64_e32 v[14:15], v[18:19], v[14:15]
	s_delay_alu instid0(VALU_DEP_1) | instskip(NEXT) | instid1(VALU_DEP_1)
	v_add_f64_e32 v[16:17], v[20:21], v[14:15]
	v_mul_f64_e32 v[14:15], s[30:31], v[16:17]
	ds_store_b64 v5, v[16:17]
	s_cbranch_vccnz .LBB6_31
; %bb.30:                               ;   in Loop: Header=BB6_5 Depth=1
	v_lshl_add_u64 v[16:17], v[6:7], 3, s[14:15]
	global_load_b64 v[16:17], v[16:17], off
	s_wait_loadcnt 0x0
	v_fmac_f64_e32 v[14:15], s[36:37], v[16:17]
.LBB6_31:                               ;   in Loop: Header=BB6_5 Depth=1
	s_or_b32 s29, s29, exec_lo
.LBB6_32:                               ;   in Loop: Header=BB6_5 Depth=1
	s_wait_xcnt 0x0
	s_or_b32 exec_lo, exec_lo, s20
.LBB6_33:                               ;   in Loop: Header=BB6_5 Depth=1
	s_and_saveexec_b32 s20, s29
	s_cbranch_execz .LBB6_3
; %bb.34:                               ;   in Loop: Header=BB6_5 Depth=1
	v_lshl_add_u64 v[16:17], v[6:7], 3, s[14:15]
	global_store_b64 v[16:17], v[14:15], off
	s_branch .LBB6_3
.LBB6_35:
	s_endpgm
	.section	.rodata,"a",@progbits
	.p2align	6, 0x0
	.amdhsa_kernel _ZL19rocblas_sbmv_kernelILb1ELi64ELi16EdPKdPdEviiT2_lT3_lllS4_lllS3_lT4_llli
		.amdhsa_group_segment_fixed_size 8192
		.amdhsa_private_segment_fixed_size 0
		.amdhsa_kernarg_size 400
		.amdhsa_user_sgpr_count 2
		.amdhsa_user_sgpr_dispatch_ptr 0
		.amdhsa_user_sgpr_queue_ptr 0
		.amdhsa_user_sgpr_kernarg_segment_ptr 1
		.amdhsa_user_sgpr_dispatch_id 0
		.amdhsa_user_sgpr_kernarg_preload_length 0
		.amdhsa_user_sgpr_kernarg_preload_offset 0
		.amdhsa_user_sgpr_private_segment_size 0
		.amdhsa_wavefront_size32 1
		.amdhsa_uses_dynamic_stack 0
		.amdhsa_enable_private_segment 0
		.amdhsa_system_sgpr_workgroup_id_x 1
		.amdhsa_system_sgpr_workgroup_id_y 0
		.amdhsa_system_sgpr_workgroup_id_z 1
		.amdhsa_system_sgpr_workgroup_info 0
		.amdhsa_system_vgpr_workitem_id 1
		.amdhsa_next_free_vgpr 32
		.amdhsa_next_free_sgpr 45
		.amdhsa_named_barrier_count 0
		.amdhsa_reserve_vcc 1
		.amdhsa_float_round_mode_32 0
		.amdhsa_float_round_mode_16_64 0
		.amdhsa_float_denorm_mode_32 3
		.amdhsa_float_denorm_mode_16_64 3
		.amdhsa_fp16_overflow 0
		.amdhsa_memory_ordered 1
		.amdhsa_forward_progress 1
		.amdhsa_inst_pref_size 11
		.amdhsa_round_robin_scheduling 0
		.amdhsa_exception_fp_ieee_invalid_op 0
		.amdhsa_exception_fp_denorm_src 0
		.amdhsa_exception_fp_ieee_div_zero 0
		.amdhsa_exception_fp_ieee_overflow 0
		.amdhsa_exception_fp_ieee_underflow 0
		.amdhsa_exception_fp_ieee_inexact 0
		.amdhsa_exception_int_div_zero 0
	.end_amdhsa_kernel
	.section	.text._ZL19rocblas_sbmv_kernelILb1ELi64ELi16EdPKdPdEviiT2_lT3_lllS4_lllS3_lT4_llli,"axG",@progbits,_ZL19rocblas_sbmv_kernelILb1ELi64ELi16EdPKdPdEviiT2_lT3_lllS4_lllS3_lT4_llli,comdat
.Lfunc_end6:
	.size	_ZL19rocblas_sbmv_kernelILb1ELi64ELi16EdPKdPdEviiT2_lT3_lllS4_lllS3_lT4_llli, .Lfunc_end6-_ZL19rocblas_sbmv_kernelILb1ELi64ELi16EdPKdPdEviiT2_lT3_lllS4_lllS3_lT4_llli
                                        ; -- End function
	.set _ZL19rocblas_sbmv_kernelILb1ELi64ELi16EdPKdPdEviiT2_lT3_lllS4_lllS3_lT4_llli.num_vgpr, 32
	.set _ZL19rocblas_sbmv_kernelILb1ELi64ELi16EdPKdPdEviiT2_lT3_lllS4_lllS3_lT4_llli.num_agpr, 0
	.set _ZL19rocblas_sbmv_kernelILb1ELi64ELi16EdPKdPdEviiT2_lT3_lllS4_lllS3_lT4_llli.numbered_sgpr, 45
	.set _ZL19rocblas_sbmv_kernelILb1ELi64ELi16EdPKdPdEviiT2_lT3_lllS4_lllS3_lT4_llli.num_named_barrier, 0
	.set _ZL19rocblas_sbmv_kernelILb1ELi64ELi16EdPKdPdEviiT2_lT3_lllS4_lllS3_lT4_llli.private_seg_size, 0
	.set _ZL19rocblas_sbmv_kernelILb1ELi64ELi16EdPKdPdEviiT2_lT3_lllS4_lllS3_lT4_llli.uses_vcc, 1
	.set _ZL19rocblas_sbmv_kernelILb1ELi64ELi16EdPKdPdEviiT2_lT3_lllS4_lllS3_lT4_llli.uses_flat_scratch, 0
	.set _ZL19rocblas_sbmv_kernelILb1ELi64ELi16EdPKdPdEviiT2_lT3_lllS4_lllS3_lT4_llli.has_dyn_sized_stack, 0
	.set _ZL19rocblas_sbmv_kernelILb1ELi64ELi16EdPKdPdEviiT2_lT3_lllS4_lllS3_lT4_llli.has_recursion, 0
	.set _ZL19rocblas_sbmv_kernelILb1ELi64ELi16EdPKdPdEviiT2_lT3_lllS4_lllS3_lT4_llli.has_indirect_call, 0
	.section	.AMDGPU.csdata,"",@progbits
; Kernel info:
; codeLenInByte = 1300
; TotalNumSgprs: 47
; NumVgprs: 32
; ScratchSize: 0
; MemoryBound: 1
; FloatMode: 240
; IeeeMode: 1
; LDSByteSize: 8192 bytes/workgroup (compile time only)
; SGPRBlocks: 0
; VGPRBlocks: 1
; NumSGPRsForWavesPerEU: 47
; NumVGPRsForWavesPerEU: 32
; NamedBarCnt: 0
; Occupancy: 16
; WaveLimiterHint : 1
; COMPUTE_PGM_RSRC2:SCRATCH_EN: 0
; COMPUTE_PGM_RSRC2:USER_SGPR: 2
; COMPUTE_PGM_RSRC2:TRAP_HANDLER: 0
; COMPUTE_PGM_RSRC2:TGID_X_EN: 1
; COMPUTE_PGM_RSRC2:TGID_Y_EN: 0
; COMPUTE_PGM_RSRC2:TGID_Z_EN: 1
; COMPUTE_PGM_RSRC2:TIDIG_COMP_CNT: 1
	.section	.text._ZL19rocblas_sbmv_kernelILb0ELi64ELi16EdPKdPdEviiT2_lT3_lllS4_lllS3_lT4_llli,"axG",@progbits,_ZL19rocblas_sbmv_kernelILb0ELi64ELi16EdPKdPdEviiT2_lT3_lllS4_lllS3_lT4_llli,comdat
	.globl	_ZL19rocblas_sbmv_kernelILb0ELi64ELi16EdPKdPdEviiT2_lT3_lllS4_lllS3_lT4_llli ; -- Begin function _ZL19rocblas_sbmv_kernelILb0ELi64ELi16EdPKdPdEviiT2_lT3_lllS4_lllS3_lT4_llli
	.p2align	8
	.type	_ZL19rocblas_sbmv_kernelILb0ELi64ELi16EdPKdPdEviiT2_lT3_lllS4_lllS3_lT4_llli,@function
_ZL19rocblas_sbmv_kernelILb0ELi64ELi16EdPKdPdEviiT2_lT3_lllS4_lllS3_lT4_llli: ; @_ZL19rocblas_sbmv_kernelILb0ELi64ELi16EdPKdPdEviiT2_lT3_lllS4_lllS3_lT4_llli
; %bb.0:
	s_load_b64 s[2:3], s[0:1], 0x9c
	s_wait_kmcnt 0x0
	s_lshr_b32 s4, s2, 16
	s_and_b32 s36, s2, 0xffff
	s_and_b32 s2, s3, 0xffff
	s_mul_i32 s3, s4, s36
	s_delay_alu instid0(SALU_CYCLE_1) | instskip(NEXT) | instid1(SALU_CYCLE_1)
	s_mul_i32 s3, s3, s2
	s_cmp_lg_u32 s3, 0x400
	s_cbranch_scc1 .LBB7_35
; %bb.1:
	s_load_b32 s33, s[0:1], 0x88
	s_bfe_u32 s2, ttmp6, 0x40014
	s_lshr_b32 s3, ttmp7, 16
	s_add_co_i32 s2, s2, 1
	s_bfe_u32 s4, ttmp6, 0x40008
	s_mul_i32 s2, s3, s2
	s_getreg_b32 s37, hwreg(HW_REG_IB_STS2, 6, 4)
	s_add_co_i32 s4, s4, s2
	s_cmp_eq_u32 s37, 0
	s_cselect_b32 s2, s3, s4
	s_mov_b32 s3, 0
	s_wait_kmcnt 0x0
	s_cmp_ge_u32 s2, s33
	s_cbranch_scc1 .LBB7_35
; %bb.2:
	s_clause 0x3
	s_load_b128 s[28:31], s[0:1], 0x0
	s_load_b64 s[34:35], s[0:1], 0x58
	s_load_b512 s[4:19], s[0:1], 0x18
	s_load_b256 s[20:27], s[0:1], 0x68
	s_wait_xcnt 0x0
	s_bfe_u32 s0, ttmp6, 0x4000c
	v_and_b32_e32 v1, 0x3ff, v0
	v_bfe_u32 v0, v0, 10, 10
	s_add_co_i32 s0, s0, 1
	s_and_b32 s1, ttmp6, 15
	s_mul_i32 s0, ttmp9, s0
	s_delay_alu instid0(VALU_DEP_1) | instskip(SKIP_1) | instid1(VALU_DEP_1)
	v_mad_u32_u24 v1, v0, s36, v1
	s_add_co_i32 s1, s1, s0
	v_cmp_gt_u32_e32 vcc_lo, 64, v1
	s_wait_kmcnt 0x0
	v_cmp_neq_f64_e64 s38, s[30:31], 0
	v_cmp_neq_f64_e64 s39, s[34:35], 1.0
	s_lshl_b64 s[6:7], s[6:7], 3
	s_lshl_b64 s[14:15], s[14:15], 3
	;; [unrolled: 1-line block ×3, first 2 shown]
	s_add_nc_u64 s[12:13], s[12:13], s[14:15]
	s_add_nc_u64 s[14:15], s[20:21], s[22:23]
	s_mov_b64 s[20:21], 0xffffffffffffff80
	s_or_b32 s36, s38, s39
	s_cmp_eq_u32 s37, 0
	s_cselect_b32 s37, ttmp9, s1
	s_lshl_b64 s[0:1], s[8:9], 3
	s_lshl_b32 s37, s37, 6
	s_delay_alu instid0(SALU_CYCLE_1) | instskip(SKIP_3) | instid1(VALU_DEP_3)
	v_dual_lshrrev_b32 v0, 6, v1 :: v_dual_add_nc_u32 v8, s37, v1
	v_and_or_b32 v2, v1, 63, s37
	s_add_nc_u64 s[0:1], s[0:1], -8
	v_cmp_neq_f64_e64 s37, s[34:35], 0
	v_mad_nc_u64_u32 v[10:11], v0, s0, s[6:7]
	s_delay_alu instid0(VALU_DEP_3)
	v_dual_ashrrev_i32 v9, 31, v8 :: v_dual_ashrrev_i32 v3, 31, v2
	v_cmp_gt_i32_e64 s0, s28, v8
	v_sub_nc_u32_e32 v13, v2, v0
	s_add_nc_u64 s[6:7], s[4:5], s[6:7]
	v_mul_u64_e32 v[4:5], s[24:25], v[8:9]
	v_mul_u64_e32 v[6:7], s[8:9], v[2:3]
	v_cmp_eq_f64_e64 s25, s[30:31], 0
	v_mov_b32_e32 v9, 0
	s_and_b32 s24, vcc_lo, s0
	v_mad_u32 v11, v0, s1, v11
	v_cmp_gt_i32_e64 s0, s28, v0
	v_cmp_gt_i32_e64 s1, s28, v2
	s_lshl_b64 s[8:9], s[8:9], 7
	v_sub_nc_u32_e32 v12, 0, v2
	s_add_nc_u64 s[8:9], s[8:9], s[20:21]
	v_lshl_add_u64 v[10:11], v[2:3], 3, v[10:11]
	v_dual_lshlrev_b32 v3, 3, v1 :: v_dual_mov_b32 v1, v9
	s_delay_alu instid0(VALU_DEP_2)
	v_add_nc_u64_e32 v[10:11], s[4:5], v[10:11]
	s_lshl_b64 s[4:5], s[10:11], 3
	s_branch .LBB7_5
.LBB7_3:                                ;   in Loop: Header=BB7_5 Depth=1
	s_wait_xcnt 0x0
	s_or_b32 exec_lo, exec_lo, s22
.LBB7_4:                                ;   in Loop: Header=BB7_5 Depth=1
	s_add_co_i32 s2, s2, 0x10000
	s_delay_alu instid0(SALU_CYCLE_1)
	s_cmp_lt_u32 s2, s33
	s_cbranch_scc0 .LBB7_35
.LBB7_5:                                ; =>This Loop Header: Depth=1
                                        ;     Child Loop BB7_18 Depth 2
	s_and_not1_b32 vcc_lo, exec_lo, s36
	s_cbranch_vccnz .LBB7_4
; %bb.6:                                ;   in Loop: Header=BB7_5 Depth=1
	s_mul_u64 s[20:21], s[26:27], s[2:3]
	s_and_not1_b32 vcc_lo, exec_lo, s25
	s_lshl_b64 s[20:21], s[20:21], 3
	s_delay_alu instid0(SALU_CYCLE_1)
	s_add_nc_u64 s[20:21], s[14:15], s[20:21]
	s_cbranch_vccnz .LBB7_10
; %bb.7:                                ;   in Loop: Header=BB7_5 Depth=1
	s_mov_b32 s22, 0
	s_mov_b32 s38, 0
                                        ; implicit-def: $vgpr14_vgpr15
	s_and_saveexec_b32 s23, s24
	s_cbranch_execz .LBB7_11
; %bb.8:                                ;   in Loop: Header=BB7_5 Depth=1
	s_and_not1_b32 vcc_lo, exec_lo, s37
	s_cbranch_vccnz .LBB7_12
; %bb.9:                                ;   in Loop: Header=BB7_5 Depth=1
	v_lshl_add_u64 v[14:15], v[4:5], 3, s[20:21]
	global_load_b64 v[14:15], v[14:15], off
	s_wait_loadcnt 0x0
	s_wait_xcnt 0x0
	v_mul_f64_e32 v[14:15], s[34:35], v[14:15]
	s_branch .LBB7_13
.LBB7_10:                               ;   in Loop: Header=BB7_5 Depth=1
	s_mov_b32 s38, 0
                                        ; implicit-def: $vgpr14_vgpr15
	s_cbranch_execnz .LBB7_14
	s_branch .LBB7_33
.LBB7_11:                               ;   in Loop: Header=BB7_5 Depth=1
	s_or_b32 exec_lo, exec_lo, s23
	s_delay_alu instid0(SALU_CYCLE_1)
	s_and_b32 vcc_lo, exec_lo, s22
	s_cbranch_vccnz .LBB7_14
	s_branch .LBB7_33
.LBB7_12:                               ;   in Loop: Header=BB7_5 Depth=1
	v_mov_b64_e32 v[14:15], 0
.LBB7_13:                               ;   in Loop: Header=BB7_5 Depth=1
	s_mov_b32 s38, exec_lo
	s_or_b32 exec_lo, exec_lo, s23
	s_delay_alu instid0(SALU_CYCLE_1)
	s_and_b32 vcc_lo, exec_lo, s22
	s_cbranch_vccz .LBB7_33
.LBB7_14:                               ;   in Loop: Header=BB7_5 Depth=1
	v_mov_b64_e32 v[14:15], 0
	s_and_saveexec_b32 s39, s0
	s_cbranch_execz .LBB7_28
; %bb.15:                               ;   in Loop: Header=BB7_5 Depth=1
	v_mad_nc_u64_u32 v[16:17], s4, s2, v[10:11]
	s_mul_u64 s[22:23], s[10:11], s[2:3]
	v_mov_b64_e32 v[14:15], 0
	s_lshl_b64 s[22:23], s[22:23], 3
	v_mov_b64_e32 v[20:21], v[0:1]
	s_add_nc_u64 s[22:23], s[6:7], s[22:23]
	s_mul_u64 s[40:41], s[18:19], s[2:3]
	v_lshl_add_u64 v[18:19], v[6:7], 3, s[22:23]
	v_dual_mov_b32 v26, v13 :: v_dual_mov_b32 v8, v0
	s_lshl_b64 s[40:41], s[40:41], 3
	v_mad_u32 v17, s5, s2, v17
	s_add_nc_u64 s[22:23], s[12:13], s[40:41]
	s_mov_b32 s40, 0
	s_branch .LBB7_18
.LBB7_16:                               ;   in Loop: Header=BB7_18 Depth=2
	s_wait_xcnt 0x0
	s_or_b32 exec_lo, exec_lo, s43
.LBB7_17:                               ;   in Loop: Header=BB7_18 Depth=2
	s_delay_alu instid0(SALU_CYCLE_1) | instskip(SKIP_1) | instid1(VALU_DEP_2)
	s_or_b32 exec_lo, exec_lo, s41
	v_add_nc_u64_e32 v[20:21], 16, v[20:21]
	v_add_nc_u64_e32 v[16:17], s[8:9], v[16:17]
	v_dual_add_nc_u32 v8, 16, v8 :: v_dual_add_nc_u32 v26, -16, v26
	s_delay_alu instid0(VALU_DEP_3) | instskip(SKIP_1) | instid1(SALU_CYCLE_1)
	v_cmp_le_i32_e32 vcc_lo, s28, v20
	s_or_b32 s40, vcc_lo, s40
	s_and_not1_b32 exec_lo, exec_lo, s40
	s_cbranch_execz .LBB7_27
.LBB7_18:                               ;   Parent Loop BB7_5 Depth=1
                                        ; =>  This Inner Loop Header: Depth=2
	s_and_saveexec_b32 s41, s1
	s_cbranch_execz .LBB7_17
; %bb.19:                               ;   in Loop: Header=BB7_18 Depth=2
	s_mov_b32 s42, 0
	s_mov_b32 s43, exec_lo
	v_cmpx_ge_i32_e64 v2, v20
	s_xor_b32 s43, exec_lo, s43
; %bb.20:                               ;   in Loop: Header=BB7_18 Depth=2
	v_cmp_ge_i32_e32 vcc_lo, s29, v26
	s_and_b32 s42, vcc_lo, exec_lo
; %bb.21:                               ;   in Loop: Header=BB7_18 Depth=2
	s_or_saveexec_b32 s43, s43
	v_mov_b64_e32 v[22:23], v[16:17]
	v_mov_b64_e32 v[24:25], v[20:21]
	s_xor_b32 exec_lo, exec_lo, s43
	s_cbranch_execz .LBB7_25
; %bb.22:                               ;   in Loop: Header=BB7_18 Depth=2
	v_add_nc_u32_e32 v22, v12, v20
	s_mov_b32 s45, s42
                                        ; implicit-def: $vgpr24_vgpr25
	s_delay_alu instid0(VALU_DEP_1)
	v_cmp_ge_i32_e32 vcc_lo, s29, v22
                                        ; implicit-def: $vgpr22_vgpr23
	s_and_saveexec_b32 s44, vcc_lo
; %bb.23:                               ;   in Loop: Header=BB7_18 Depth=2
	v_sub_nc_u32_e32 v22, v8, v2
	v_mov_b64_e32 v[24:25], v[8:9]
	s_or_b32 s45, s42, exec_lo
	s_delay_alu instid0(VALU_DEP_2) | instskip(NEXT) | instid1(VALU_DEP_1)
	v_ashrrev_i32_e32 v23, 31, v22
	v_lshl_add_u64 v[22:23], v[22:23], 3, v[18:19]
; %bb.24:                               ;   in Loop: Header=BB7_18 Depth=2
	s_or_b32 exec_lo, exec_lo, s44
	s_delay_alu instid0(SALU_CYCLE_1) | instskip(SKIP_1) | instid1(SALU_CYCLE_1)
	s_and_not1_b32 s42, s42, exec_lo
	s_and_b32 s44, s45, exec_lo
	s_or_b32 s42, s42, s44
.LBB7_25:                               ;   in Loop: Header=BB7_18 Depth=2
	s_or_b32 exec_lo, exec_lo, s43
	s_and_saveexec_b32 s43, s42
	s_cbranch_execz .LBB7_16
; %bb.26:                               ;   in Loop: Header=BB7_18 Depth=2
	s_delay_alu instid0(VALU_DEP_1) | instskip(NEXT) | instid1(VALU_DEP_1)
	v_mul_u64_e32 v[24:25], s[16:17], v[24:25]
	v_lshl_add_u64 v[24:25], v[24:25], 3, s[22:23]
	global_load_b64 v[28:29], v[22:23], off
	global_load_b64 v[30:31], v[24:25], off
	s_wait_loadcnt 0x0
	v_fmac_f64_e32 v[14:15], v[28:29], v[30:31]
	s_branch .LBB7_16
.LBB7_27:                               ;   in Loop: Header=BB7_5 Depth=1
	s_or_b32 exec_lo, exec_lo, s40
.LBB7_28:                               ;   in Loop: Header=BB7_5 Depth=1
	s_delay_alu instid0(SALU_CYCLE_1)
	s_or_b32 exec_lo, exec_lo, s39
	ds_store_b64 v3, v[14:15]
	s_wait_dscnt 0x0
	s_barrier_signal -1
	s_barrier_wait -1
                                        ; implicit-def: $vgpr14_vgpr15
	s_and_saveexec_b32 s22, s24
	s_cbranch_execz .LBB7_32
; %bb.29:                               ;   in Loop: Header=BB7_5 Depth=1
	ds_load_2addr_stride64_b64 v[14:17], v3 offset1:1
	ds_load_2addr_stride64_b64 v[18:21], v3 offset0:2 offset1:3
	s_and_not1_b32 vcc_lo, exec_lo, s37
	s_wait_dscnt 0x1
	v_add_f64_e32 v[14:15], v[14:15], v[16:17]
	s_wait_dscnt 0x0
	s_delay_alu instid0(VALU_DEP_1) | instskip(NEXT) | instid1(VALU_DEP_1)
	v_add_f64_e32 v[14:15], v[18:19], v[14:15]
	v_add_f64_e32 v[22:23], v[20:21], v[14:15]
	ds_load_2addr_stride64_b64 v[14:17], v3 offset0:4 offset1:5
	ds_load_2addr_stride64_b64 v[18:21], v3 offset0:6 offset1:7
	s_wait_dscnt 0x1
	v_add_f64_e32 v[14:15], v[14:15], v[22:23]
	s_delay_alu instid0(VALU_DEP_1) | instskip(SKIP_1) | instid1(VALU_DEP_1)
	v_add_f64_e32 v[14:15], v[16:17], v[14:15]
	s_wait_dscnt 0x0
	v_add_f64_e32 v[14:15], v[18:19], v[14:15]
	s_delay_alu instid0(VALU_DEP_1) | instskip(SKIP_4) | instid1(VALU_DEP_1)
	v_add_f64_e32 v[22:23], v[20:21], v[14:15]
	ds_load_2addr_stride64_b64 v[14:17], v3 offset0:8 offset1:9
	ds_load_2addr_stride64_b64 v[18:21], v3 offset0:10 offset1:11
	s_wait_dscnt 0x1
	v_add_f64_e32 v[14:15], v[14:15], v[22:23]
	v_add_f64_e32 v[14:15], v[16:17], v[14:15]
	s_wait_dscnt 0x0
	s_delay_alu instid0(VALU_DEP_1) | instskip(NEXT) | instid1(VALU_DEP_1)
	v_add_f64_e32 v[14:15], v[18:19], v[14:15]
	v_add_f64_e32 v[22:23], v[20:21], v[14:15]
	ds_load_2addr_stride64_b64 v[14:17], v3 offset0:12 offset1:13
	ds_load_2addr_stride64_b64 v[18:21], v3 offset0:14 offset1:15
	s_wait_dscnt 0x1
	v_add_f64_e32 v[14:15], v[14:15], v[22:23]
	s_delay_alu instid0(VALU_DEP_1) | instskip(SKIP_1) | instid1(VALU_DEP_1)
	v_add_f64_e32 v[14:15], v[16:17], v[14:15]
	s_wait_dscnt 0x0
	v_add_f64_e32 v[14:15], v[18:19], v[14:15]
	s_delay_alu instid0(VALU_DEP_1) | instskip(NEXT) | instid1(VALU_DEP_1)
	v_add_f64_e32 v[16:17], v[20:21], v[14:15]
	v_mul_f64_e32 v[14:15], s[30:31], v[16:17]
	ds_store_b64 v3, v[16:17]
	s_cbranch_vccnz .LBB7_31
; %bb.30:                               ;   in Loop: Header=BB7_5 Depth=1
	v_lshl_add_u64 v[16:17], v[4:5], 3, s[20:21]
	global_load_b64 v[16:17], v[16:17], off
	s_wait_loadcnt 0x0
	v_fmac_f64_e32 v[14:15], s[34:35], v[16:17]
.LBB7_31:                               ;   in Loop: Header=BB7_5 Depth=1
	s_or_b32 s38, s38, exec_lo
.LBB7_32:                               ;   in Loop: Header=BB7_5 Depth=1
	s_wait_xcnt 0x0
	s_or_b32 exec_lo, exec_lo, s22
.LBB7_33:                               ;   in Loop: Header=BB7_5 Depth=1
	s_and_saveexec_b32 s22, s38
	s_cbranch_execz .LBB7_3
; %bb.34:                               ;   in Loop: Header=BB7_5 Depth=1
	v_lshl_add_u64 v[16:17], v[4:5], 3, s[20:21]
	global_store_b64 v[16:17], v[14:15], off
	s_branch .LBB7_3
.LBB7_35:
	s_endpgm
	.section	.rodata,"a",@progbits
	.p2align	6, 0x0
	.amdhsa_kernel _ZL19rocblas_sbmv_kernelILb0ELi64ELi16EdPKdPdEviiT2_lT3_lllS4_lllS3_lT4_llli
		.amdhsa_group_segment_fixed_size 8192
		.amdhsa_private_segment_fixed_size 0
		.amdhsa_kernarg_size 400
		.amdhsa_user_sgpr_count 2
		.amdhsa_user_sgpr_dispatch_ptr 0
		.amdhsa_user_sgpr_queue_ptr 0
		.amdhsa_user_sgpr_kernarg_segment_ptr 1
		.amdhsa_user_sgpr_dispatch_id 0
		.amdhsa_user_sgpr_kernarg_preload_length 0
		.amdhsa_user_sgpr_kernarg_preload_offset 0
		.amdhsa_user_sgpr_private_segment_size 0
		.amdhsa_wavefront_size32 1
		.amdhsa_uses_dynamic_stack 0
		.amdhsa_enable_private_segment 0
		.amdhsa_system_sgpr_workgroup_id_x 1
		.amdhsa_system_sgpr_workgroup_id_y 0
		.amdhsa_system_sgpr_workgroup_id_z 1
		.amdhsa_system_sgpr_workgroup_info 0
		.amdhsa_system_vgpr_workitem_id 1
		.amdhsa_next_free_vgpr 32
		.amdhsa_next_free_sgpr 46
		.amdhsa_named_barrier_count 0
		.amdhsa_reserve_vcc 1
		.amdhsa_float_round_mode_32 0
		.amdhsa_float_round_mode_16_64 0
		.amdhsa_float_denorm_mode_32 3
		.amdhsa_float_denorm_mode_16_64 3
		.amdhsa_fp16_overflow 0
		.amdhsa_memory_ordered 1
		.amdhsa_forward_progress 1
		.amdhsa_inst_pref_size 11
		.amdhsa_round_robin_scheduling 0
		.amdhsa_exception_fp_ieee_invalid_op 0
		.amdhsa_exception_fp_denorm_src 0
		.amdhsa_exception_fp_ieee_div_zero 0
		.amdhsa_exception_fp_ieee_overflow 0
		.amdhsa_exception_fp_ieee_underflow 0
		.amdhsa_exception_fp_ieee_inexact 0
		.amdhsa_exception_int_div_zero 0
	.end_amdhsa_kernel
	.section	.text._ZL19rocblas_sbmv_kernelILb0ELi64ELi16EdPKdPdEviiT2_lT3_lllS4_lllS3_lT4_llli,"axG",@progbits,_ZL19rocblas_sbmv_kernelILb0ELi64ELi16EdPKdPdEviiT2_lT3_lllS4_lllS3_lT4_llli,comdat
.Lfunc_end7:
	.size	_ZL19rocblas_sbmv_kernelILb0ELi64ELi16EdPKdPdEviiT2_lT3_lllS4_lllS3_lT4_llli, .Lfunc_end7-_ZL19rocblas_sbmv_kernelILb0ELi64ELi16EdPKdPdEviiT2_lT3_lllS4_lllS3_lT4_llli
                                        ; -- End function
	.set _ZL19rocblas_sbmv_kernelILb0ELi64ELi16EdPKdPdEviiT2_lT3_lllS4_lllS3_lT4_llli.num_vgpr, 32
	.set _ZL19rocblas_sbmv_kernelILb0ELi64ELi16EdPKdPdEviiT2_lT3_lllS4_lllS3_lT4_llli.num_agpr, 0
	.set _ZL19rocblas_sbmv_kernelILb0ELi64ELi16EdPKdPdEviiT2_lT3_lllS4_lllS3_lT4_llli.numbered_sgpr, 46
	.set _ZL19rocblas_sbmv_kernelILb0ELi64ELi16EdPKdPdEviiT2_lT3_lllS4_lllS3_lT4_llli.num_named_barrier, 0
	.set _ZL19rocblas_sbmv_kernelILb0ELi64ELi16EdPKdPdEviiT2_lT3_lllS4_lllS3_lT4_llli.private_seg_size, 0
	.set _ZL19rocblas_sbmv_kernelILb0ELi64ELi16EdPKdPdEviiT2_lT3_lllS4_lllS3_lT4_llli.uses_vcc, 1
	.set _ZL19rocblas_sbmv_kernelILb0ELi64ELi16EdPKdPdEviiT2_lT3_lllS4_lllS3_lT4_llli.uses_flat_scratch, 0
	.set _ZL19rocblas_sbmv_kernelILb0ELi64ELi16EdPKdPdEviiT2_lT3_lllS4_lllS3_lT4_llli.has_dyn_sized_stack, 0
	.set _ZL19rocblas_sbmv_kernelILb0ELi64ELi16EdPKdPdEviiT2_lT3_lllS4_lllS3_lT4_llli.has_recursion, 0
	.set _ZL19rocblas_sbmv_kernelILb0ELi64ELi16EdPKdPdEviiT2_lT3_lllS4_lllS3_lT4_llli.has_indirect_call, 0
	.section	.AMDGPU.csdata,"",@progbits
; Kernel info:
; codeLenInByte = 1284
; TotalNumSgprs: 48
; NumVgprs: 32
; ScratchSize: 0
; MemoryBound: 1
; FloatMode: 240
; IeeeMode: 1
; LDSByteSize: 8192 bytes/workgroup (compile time only)
; SGPRBlocks: 0
; VGPRBlocks: 1
; NumSGPRsForWavesPerEU: 48
; NumVGPRsForWavesPerEU: 32
; NamedBarCnt: 0
; Occupancy: 16
; WaveLimiterHint : 1
; COMPUTE_PGM_RSRC2:SCRATCH_EN: 0
; COMPUTE_PGM_RSRC2:USER_SGPR: 2
; COMPUTE_PGM_RSRC2:TRAP_HANDLER: 0
; COMPUTE_PGM_RSRC2:TGID_X_EN: 1
; COMPUTE_PGM_RSRC2:TGID_Y_EN: 0
; COMPUTE_PGM_RSRC2:TGID_Z_EN: 1
; COMPUTE_PGM_RSRC2:TIDIG_COMP_CNT: 1
	.section	.text._ZL19rocblas_sbmv_kernelILb1ELi64ELi16EPKfPKS1_PKPfEviiT2_lT3_lllS8_lllS7_lT4_llli,"axG",@progbits,_ZL19rocblas_sbmv_kernelILb1ELi64ELi16EPKfPKS1_PKPfEviiT2_lT3_lllS8_lllS7_lT4_llli,comdat
	.globl	_ZL19rocblas_sbmv_kernelILb1ELi64ELi16EPKfPKS1_PKPfEviiT2_lT3_lllS8_lllS7_lT4_llli ; -- Begin function _ZL19rocblas_sbmv_kernelILb1ELi64ELi16EPKfPKS1_PKPfEviiT2_lT3_lllS8_lllS7_lT4_llli
	.p2align	8
	.type	_ZL19rocblas_sbmv_kernelILb1ELi64ELi16EPKfPKS1_PKPfEviiT2_lT3_lllS8_lllS7_lT4_llli,@function
_ZL19rocblas_sbmv_kernelILb1ELi64ELi16EPKfPKS1_PKPfEviiT2_lT3_lllS8_lllS7_lT4_llli: ; @_ZL19rocblas_sbmv_kernelILb1ELi64ELi16EPKfPKS1_PKPfEviiT2_lT3_lllS8_lllS7_lT4_llli
; %bb.0:
	s_clause 0x1
	s_load_b64 s[4:5], s[0:1], 0x9c
	s_load_b32 s33, s[0:1], 0x88
	s_bfe_u32 s2, ttmp6, 0x40014
	s_lshr_b32 s6, ttmp7, 16
	s_add_co_i32 s2, s2, 1
	s_bfe_u32 s3, ttmp6, 0x40008
	s_mul_i32 s7, s6, s2
	s_getreg_b32 s2, hwreg(HW_REG_IB_STS2, 6, 4)
	s_add_co_i32 s7, s3, s7
	s_mov_b32 s25, 0
	s_wait_kmcnt 0x0
	s_lshr_b32 s8, s4, 16
	s_and_b32 s3, s4, 0xffff
	s_and_b32 s4, s5, 0xffff
	s_mul_i32 s5, s8, s3
	s_cmp_eq_u32 s2, 0
	s_mul_i32 s5, s5, s4
	s_cselect_b32 s24, s6, s7
	s_cmp_lg_u32 s5, 0x400
	s_cselect_b32 s4, -1, 0
	s_cmp_ge_u32 s24, s33
	s_cselect_b32 s5, -1, 0
	s_delay_alu instid0(SALU_CYCLE_1) | instskip(NEXT) | instid1(SALU_CYCLE_1)
	s_or_b32 s4, s4, s5
	s_and_b32 vcc_lo, exec_lo, s4
	s_cbranch_vccnz .LBB8_38
; %bb.1:
	s_clause 0x1
	s_load_b64 s[30:31], s[0:1], 0x28
	s_load_b64 s[26:27], s[0:1], 0x0
	v_and_b32_e32 v1, 0x3ff, v0
	v_bfe_u32 v0, v0, 10, 10
	s_bfe_u32 s6, ttmp6, 0x4000c
	s_clause 0x1
	s_load_b64 s[4:5], s[0:1], 0x78
	s_load_b128 s[20:23], s[0:1], 0x38
	s_add_co_i32 s6, s6, 1
	v_mad_u32_u24 v0, v0, s3, v1
	s_and_b32 s7, ttmp6, 15
	s_mul_i32 s6, ttmp9, s6
	v_mov_b32_e32 v1, 0
	s_add_co_i32 s7, s7, s6
	s_cmp_eq_u32 s2, 0
	v_and_b32_e32 v14, 63, v0
	s_cselect_b32 s2, ttmp9, s7
	v_dual_mov_b32 v3, v1 :: v_dual_lshrrev_b32 v2, 6, v0
	s_lshl_b32 s3, s2, 6
	v_cmp_gt_u32_e32 vcc_lo, 64, v0
	v_dual_add_nc_u32 v10, s3, v0 :: v_dual_bitop2_b32 v4, s3, v14 bitop3:0x54
	s_wait_kmcnt 0x0
	v_mul_u64_e32 v[12:13], s[30:31], v[2:3]
	s_delay_alu instid0(VALU_DEP_2)
	v_dual_ashrrev_i32 v11, 31, v10 :: v_dual_ashrrev_i32 v5, 31, v4
	v_cmp_gt_i32_e64 s2, s26, v10
	s_lshl_b64 s[22:23], s[22:23], 2
	v_mul_u64_e32 v[6:7], s[4:5], v[10:11]
	v_mul_u64_e32 v[8:9], s[30:31], v[4:5]
	s_clause 0x2
	s_load_b256 s[4:11], s[0:1], 0x8
	s_load_b256 s[12:19], s[0:1], 0x58
	s_load_b64 s[28:29], s[0:1], 0x48
	v_lshlrev_b32_e32 v5, 2, v0
	v_add3_u32 v0, s27, s3, v14
	v_sub_nc_u32_e32 v14, s27, v14
	s_wait_xcnt 0x0
	v_cmp_gt_i32_e64 s0, s26, v2
	v_cmp_gt_i32_e64 s1, s26, v4
	s_and_b32 s27, vcc_lo, s2
	s_lshl_b64 s[30:31], s[30:31], 6
	s_wait_kmcnt 0x0
	s_lshl_b64 s[10:11], s[10:11], 2
	s_lshl_b64 s[18:19], s[18:19], 2
	v_lshlrev_b64_e32 v[10:11], 2, v[12:13]
	v_sub_nc_u32_e32 v13, v0, v2
	v_subrev_nc_u32_e32 v12, s3, v14
	s_branch .LBB8_4
.LBB8_2:                                ;   in Loop: Header=BB8_4 Depth=1
	s_wait_xcnt 0x0
	s_or_b32 exec_lo, exec_lo, s3
.LBB8_3:                                ;   in Loop: Header=BB8_4 Depth=1
	s_add_co_i32 s24, s24, 0x10000
	s_delay_alu instid0(SALU_CYCLE_1)
	s_cmp_lt_u32 s24, s33
	s_cbranch_scc0 .LBB8_38
.LBB8_4:                                ; =>This Loop Header: Depth=1
                                        ;     Child Loop BB8_21 Depth 2
	s_mul_u64 s[2:3], s[6:7], s[24:25]
	s_mul_u64 s[34:35], s[14:15], s[24:25]
	s_lshl_b64 s[2:3], s[2:3], 2
	s_lshl_b64 s[34:35], s[34:35], 2
	s_add_nc_u64 s[2:3], s[4:5], s[2:3]
	s_add_nc_u64 s[34:35], s[12:13], s[34:35]
	s_clause 0x1
	global_load_b32 v32, v1, s[2:3]
	global_load_b32 v0, v1, s[34:35]
	s_wait_loadcnt 0x1
	s_wait_xcnt 0x1
	v_cmp_eq_f32_e64 s2, 0, v32
	s_wait_loadcnt 0x0
	v_cmp_eq_f32_e32 vcc_lo, 1.0, v0
	s_wait_xcnt 0x0
	v_readfirstlane_b32 s34, v0
	s_and_b32 s3, s2, vcc_lo
	s_delay_alu instid0(SALU_CYCLE_1)
	s_and_b32 vcc_lo, exec_lo, s3
	s_cbranch_vccnz .LBB8_3
; %bb.5:                                ;   in Loop: Header=BB8_4 Depth=1
	v_mov_b64_e32 v[16:17], 0
	v_mov_b64_e32 v[20:21], 0
	v_cmp_neq_f32_e64 s3, 0, v32
	s_and_b32 vcc_lo, exec_lo, s2
	s_cbranch_vccnz .LBB8_7
; %bb.6:                                ;   in Loop: Header=BB8_4 Depth=1
	s_lshl_b64 s[36:37], s[24:25], 3
	s_delay_alu instid0(SALU_CYCLE_1)
	s_add_nc_u64 s[36:37], s[8:9], s[36:37]
	global_load_b64 v[14:15], v1, s[36:37]
	s_wait_loadcnt 0x0
	v_add_nc_u64_e32 v[20:21], s[10:11], v[14:15]
.LBB8_7:                                ;   in Loop: Header=BB8_4 Depth=1
	s_and_not1_b32 vcc_lo, exec_lo, s3
	s_cbranch_vccnz .LBB8_9
; %bb.8:                                ;   in Loop: Header=BB8_4 Depth=1
	s_wait_xcnt 0x0
	s_lshl_b64 s[36:37], s[24:25], 3
	s_delay_alu instid0(SALU_CYCLE_1)
	s_add_nc_u64 s[36:37], s[20:21], s[36:37]
	global_load_b64 v[14:15], v1, s[36:37]
	s_wait_loadcnt 0x0
	v_add_nc_u64_e32 v[16:17], s[22:23], v[14:15]
.LBB8_9:                                ;   in Loop: Header=BB8_4 Depth=1
	s_wait_xcnt 0x0
	s_lshl_b64 s[36:37], s[24:25], 3
	s_and_not1_b32 vcc_lo, exec_lo, s2
	s_add_nc_u64 s[36:37], s[16:17], s[36:37]
	global_load_b64 v[14:15], v1, s[36:37]
	s_wait_loadcnt 0x0
	v_add_nc_u64_e32 v[14:15], s[18:19], v[14:15]
	s_cbranch_vccnz .LBB8_13
; %bb.10:                               ;   in Loop: Header=BB8_4 Depth=1
	s_mov_b32 s3, 0
	s_mov_b32 s2, 0
                                        ; implicit-def: $vgpr0
	s_wait_xcnt 0x0
	s_and_saveexec_b32 s35, s27
	s_cbranch_execz .LBB8_14
; %bb.11:                               ;   in Loop: Header=BB8_4 Depth=1
	s_cmp_eq_f32 s34, 0
	s_cbranch_scc1 .LBB8_15
; %bb.12:                               ;   in Loop: Header=BB8_4 Depth=1
	v_lshl_add_u64 v[18:19], v[6:7], 2, v[14:15]
	flat_load_b32 v0, v[18:19]
	s_wait_loadcnt_dscnt 0x0
	v_mul_f32_e32 v0, s34, v0
	s_branch .LBB8_16
.LBB8_13:                               ;   in Loop: Header=BB8_4 Depth=1
	s_mov_b32 s2, 0
                                        ; implicit-def: $vgpr0
	s_cbranch_execnz .LBB8_17
	s_branch .LBB8_36
.LBB8_14:                               ;   in Loop: Header=BB8_4 Depth=1
	s_or_b32 exec_lo, exec_lo, s35
	s_delay_alu instid0(SALU_CYCLE_1)
	s_and_b32 vcc_lo, exec_lo, s3
	s_cbranch_vccnz .LBB8_17
	s_branch .LBB8_36
.LBB8_15:                               ;   in Loop: Header=BB8_4 Depth=1
	v_mov_b32_e32 v0, 0
.LBB8_16:                               ;   in Loop: Header=BB8_4 Depth=1
	s_mov_b32 s2, exec_lo
	s_wait_xcnt 0x0
	s_or_b32 exec_lo, exec_lo, s35
	s_delay_alu instid0(SALU_CYCLE_1)
	s_and_b32 vcc_lo, exec_lo, s3
	s_cbranch_vccz .LBB8_36
.LBB8_17:                               ;   in Loop: Header=BB8_4 Depth=1
	v_mov_b32_e32 v33, 0
	s_wait_xcnt 0x0
	s_and_saveexec_b32 s3, s0
	s_cbranch_execz .LBB8_31
; %bb.18:                               ;   in Loop: Header=BB8_4 Depth=1
	v_lshl_add_u64 v[18:19], v[8:9], 2, v[20:21]
	v_add_nc_u64_e32 v[20:21], v[20:21], v[10:11]
	v_mov_b64_e32 v[22:23], v[2:3]
	v_dual_mov_b32 v33, 0 :: v_dual_mov_b32 v0, v13
	v_mov_b32_e32 v24, v2
	s_mov_b32 s35, 0
	s_branch .LBB8_21
.LBB8_19:                               ;   in Loop: Header=BB8_21 Depth=2
	s_wait_xcnt 0x0
	s_or_b32 exec_lo, exec_lo, s38
.LBB8_20:                               ;   in Loop: Header=BB8_21 Depth=2
	s_delay_alu instid0(SALU_CYCLE_1) | instskip(SKIP_4) | instid1(VALU_DEP_4)
	s_or_b32 exec_lo, exec_lo, s36
	v_add_nc_u64_e32 v[22:23], 16, v[22:23]
	v_add_nc_u64_e32 v[20:21], s[30:31], v[20:21]
	v_add_nc_u32_e32 v24, 16, v24
	v_add_nc_u32_e32 v0, -16, v0
	v_cmp_le_i32_e32 vcc_lo, s26, v22
	s_or_b32 s35, vcc_lo, s35
	s_delay_alu instid0(SALU_CYCLE_1)
	s_and_not1_b32 exec_lo, exec_lo, s35
	s_cbranch_execz .LBB8_30
.LBB8_21:                               ;   Parent Loop BB8_4 Depth=1
                                        ; =>  This Inner Loop Header: Depth=2
	s_and_saveexec_b32 s36, s1
	s_cbranch_execz .LBB8_20
; %bb.22:                               ;   in Loop: Header=BB8_21 Depth=2
	s_mov_b32 s37, 0
	s_mov_b32 s38, exec_lo
                                        ; implicit-def: $vgpr26_vgpr27
	v_cmpx_le_i32_e64 v4, v22
	s_xor_b32 s38, exec_lo, s38
	s_cbranch_execnz .LBB8_25
; %bb.23:                               ;   in Loop: Header=BB8_21 Depth=2
	s_or_saveexec_b32 s38, s38
	v_mov_b64_e32 v[28:29], v[22:23]
	s_xor_b32 exec_lo, exec_lo, s38
	s_cbranch_execnz .LBB8_26
.LBB8_24:                               ;   in Loop: Header=BB8_21 Depth=2
	s_or_b32 exec_lo, exec_lo, s38
	s_and_saveexec_b32 s38, s37
	s_cbranch_execz .LBB8_19
	s_branch .LBB8_29
.LBB8_25:                               ;   in Loop: Header=BB8_21 Depth=2
	v_cmp_lt_i32_e32 vcc_lo, -1, v0
	v_lshl_add_u64 v[26:27], v[0:1], 2, v[20:21]
	s_and_b32 s37, vcc_lo, exec_lo
	s_or_saveexec_b32 s38, s38
	v_mov_b64_e32 v[28:29], v[22:23]
	s_xor_b32 exec_lo, exec_lo, s38
	s_cbranch_execz .LBB8_24
.LBB8_26:                               ;   in Loop: Header=BB8_21 Depth=2
	v_add_nc_u32_e32 v30, v12, v22
	s_mov_b32 s40, s37
	s_mov_b32 s39, exec_lo
                                        ; implicit-def: $vgpr26_vgpr27
                                        ; implicit-def: $vgpr28_vgpr29
	s_delay_alu instid0(VALU_DEP_1)
	v_cmpx_lt_i32_e32 -1, v30
; %bb.27:                               ;   in Loop: Header=BB8_21 Depth=2
	v_dual_mov_b32 v31, v1 :: v_dual_mov_b32 v25, v1
	s_or_b32 s40, s37, exec_lo
	s_delay_alu instid0(VALU_DEP_1) | instskip(NEXT) | instid1(VALU_DEP_2)
	v_lshl_add_u64 v[26:27], v[30:31], 2, v[18:19]
	v_mov_b64_e32 v[28:29], v[24:25]
; %bb.28:                               ;   in Loop: Header=BB8_21 Depth=2
	s_or_b32 exec_lo, exec_lo, s39
	s_delay_alu instid0(SALU_CYCLE_1) | instskip(SKIP_1) | instid1(SALU_CYCLE_1)
	s_and_not1_b32 s37, s37, exec_lo
	s_and_b32 s39, s40, exec_lo
	s_or_b32 s37, s37, s39
	s_or_b32 exec_lo, exec_lo, s38
	s_and_saveexec_b32 s38, s37
	s_cbranch_execz .LBB8_19
.LBB8_29:                               ;   in Loop: Header=BB8_21 Depth=2
	v_mul_u64_e32 v[28:29], s[28:29], v[28:29]
	s_delay_alu instid0(VALU_DEP_1)
	v_lshl_add_u64 v[28:29], v[28:29], 2, v[16:17]
	flat_load_b32 v25, v[26:27]
	flat_load_b32 v30, v[28:29]
	s_wait_loadcnt_dscnt 0x0
	v_fmac_f32_e32 v33, v25, v30
	s_branch .LBB8_19
.LBB8_30:                               ;   in Loop: Header=BB8_4 Depth=1
	s_or_b32 exec_lo, exec_lo, s35
.LBB8_31:                               ;   in Loop: Header=BB8_4 Depth=1
	s_delay_alu instid0(SALU_CYCLE_1)
	s_or_b32 exec_lo, exec_lo, s3
	ds_store_b32 v5, v33
	s_wait_dscnt 0x0
	s_barrier_signal -1
	s_barrier_wait -1
                                        ; implicit-def: $vgpr0
	s_and_saveexec_b32 s3, s27
	s_cbranch_execz .LBB8_35
; %bb.32:                               ;   in Loop: Header=BB8_4 Depth=1
	ds_load_2addr_stride64_b32 v[16:17], v5 offset1:1
	ds_load_2addr_stride64_b32 v[18:19], v5 offset0:2 offset1:3
	ds_load_2addr_stride64_b32 v[20:21], v5 offset0:4 offset1:5
	;; [unrolled: 1-line block ×3, first 2 shown]
	s_cmp_eq_f32 s34, 0
	s_wait_dscnt 0x3
	v_add_f32_e32 v0, v16, v17
	ds_load_2addr_stride64_b32 v[16:17], v5 offset0:8 offset1:9
	s_wait_dscnt 0x3
	v_add_f32_e32 v0, v18, v0
	s_delay_alu instid0(VALU_DEP_1) | instskip(SKIP_3) | instid1(VALU_DEP_1)
	v_add_f32_e32 v0, v19, v0
	ds_load_2addr_stride64_b32 v[18:19], v5 offset0:10 offset1:11
	s_wait_dscnt 0x3
	v_add_f32_e32 v0, v20, v0
	v_add_f32_e32 v0, v21, v0
	s_wait_dscnt 0x2
	s_delay_alu instid0(VALU_DEP_1) | instskip(NEXT) | instid1(VALU_DEP_1)
	v_add_f32_e32 v0, v22, v0
	v_add_f32_e32 v0, v23, v0
	ds_load_2addr_stride64_b32 v[20:21], v5 offset0:12 offset1:13
	ds_load_2addr_stride64_b32 v[22:23], v5 offset0:14 offset1:15
	s_wait_dscnt 0x3
	v_add_f32_e32 v0, v16, v0
	s_delay_alu instid0(VALU_DEP_1) | instskip(SKIP_1) | instid1(VALU_DEP_1)
	v_add_f32_e32 v0, v17, v0
	s_wait_dscnt 0x2
	v_add_f32_e32 v0, v18, v0
	s_delay_alu instid0(VALU_DEP_1) | instskip(SKIP_1) | instid1(VALU_DEP_1)
	v_add_f32_e32 v0, v19, v0
	;; [unrolled: 4-line block ×3, first 2 shown]
	s_wait_dscnt 0x0
	v_add_f32_e32 v0, v22, v0
	s_delay_alu instid0(VALU_DEP_1) | instskip(NEXT) | instid1(VALU_DEP_1)
	v_add_f32_e32 v16, v23, v0
	v_mul_f32_e32 v0, v32, v16
	ds_store_b32 v5, v16
	s_cbranch_scc1 .LBB8_34
; %bb.33:                               ;   in Loop: Header=BB8_4 Depth=1
	v_lshl_add_u64 v[16:17], v[6:7], 2, v[14:15]
	flat_load_b32 v16, v[16:17]
	s_wait_loadcnt_dscnt 0x0
	v_fmac_f32_e32 v0, s34, v16
.LBB8_34:                               ;   in Loop: Header=BB8_4 Depth=1
	s_or_b32 s2, s2, exec_lo
.LBB8_35:                               ;   in Loop: Header=BB8_4 Depth=1
	s_wait_xcnt 0x0
	s_or_b32 exec_lo, exec_lo, s3
.LBB8_36:                               ;   in Loop: Header=BB8_4 Depth=1
	s_wait_xcnt 0x0
	s_and_saveexec_b32 s3, s2
	s_cbranch_execz .LBB8_2
; %bb.37:                               ;   in Loop: Header=BB8_4 Depth=1
	v_lshl_add_u64 v[14:15], v[6:7], 2, v[14:15]
	flat_store_b32 v[14:15], v0
	s_branch .LBB8_2
.LBB8_38:
	s_endpgm
	.section	.rodata,"a",@progbits
	.p2align	6, 0x0
	.amdhsa_kernel _ZL19rocblas_sbmv_kernelILb1ELi64ELi16EPKfPKS1_PKPfEviiT2_lT3_lllS8_lllS7_lT4_llli
		.amdhsa_group_segment_fixed_size 4096
		.amdhsa_private_segment_fixed_size 0
		.amdhsa_kernarg_size 400
		.amdhsa_user_sgpr_count 2
		.amdhsa_user_sgpr_dispatch_ptr 0
		.amdhsa_user_sgpr_queue_ptr 0
		.amdhsa_user_sgpr_kernarg_segment_ptr 1
		.amdhsa_user_sgpr_dispatch_id 0
		.amdhsa_user_sgpr_kernarg_preload_length 0
		.amdhsa_user_sgpr_kernarg_preload_offset 0
		.amdhsa_user_sgpr_private_segment_size 0
		.amdhsa_wavefront_size32 1
		.amdhsa_uses_dynamic_stack 0
		.amdhsa_enable_private_segment 0
		.amdhsa_system_sgpr_workgroup_id_x 1
		.amdhsa_system_sgpr_workgroup_id_y 0
		.amdhsa_system_sgpr_workgroup_id_z 1
		.amdhsa_system_sgpr_workgroup_info 0
		.amdhsa_system_vgpr_workitem_id 1
		.amdhsa_next_free_vgpr 34
		.amdhsa_next_free_sgpr 41
		.amdhsa_named_barrier_count 0
		.amdhsa_reserve_vcc 1
		.amdhsa_float_round_mode_32 0
		.amdhsa_float_round_mode_16_64 0
		.amdhsa_float_denorm_mode_32 3
		.amdhsa_float_denorm_mode_16_64 3
		.amdhsa_fp16_overflow 0
		.amdhsa_memory_ordered 1
		.amdhsa_forward_progress 1
		.amdhsa_inst_pref_size 12
		.amdhsa_round_robin_scheduling 0
		.amdhsa_exception_fp_ieee_invalid_op 0
		.amdhsa_exception_fp_denorm_src 0
		.amdhsa_exception_fp_ieee_div_zero 0
		.amdhsa_exception_fp_ieee_overflow 0
		.amdhsa_exception_fp_ieee_underflow 0
		.amdhsa_exception_fp_ieee_inexact 0
		.amdhsa_exception_int_div_zero 0
	.end_amdhsa_kernel
	.section	.text._ZL19rocblas_sbmv_kernelILb1ELi64ELi16EPKfPKS1_PKPfEviiT2_lT3_lllS8_lllS7_lT4_llli,"axG",@progbits,_ZL19rocblas_sbmv_kernelILb1ELi64ELi16EPKfPKS1_PKPfEviiT2_lT3_lllS8_lllS7_lT4_llli,comdat
.Lfunc_end8:
	.size	_ZL19rocblas_sbmv_kernelILb1ELi64ELi16EPKfPKS1_PKPfEviiT2_lT3_lllS8_lllS7_lT4_llli, .Lfunc_end8-_ZL19rocblas_sbmv_kernelILb1ELi64ELi16EPKfPKS1_PKPfEviiT2_lT3_lllS8_lllS7_lT4_llli
                                        ; -- End function
	.set _ZL19rocblas_sbmv_kernelILb1ELi64ELi16EPKfPKS1_PKPfEviiT2_lT3_lllS8_lllS7_lT4_llli.num_vgpr, 34
	.set _ZL19rocblas_sbmv_kernelILb1ELi64ELi16EPKfPKS1_PKPfEviiT2_lT3_lllS8_lllS7_lT4_llli.num_agpr, 0
	.set _ZL19rocblas_sbmv_kernelILb1ELi64ELi16EPKfPKS1_PKPfEviiT2_lT3_lllS8_lllS7_lT4_llli.numbered_sgpr, 41
	.set _ZL19rocblas_sbmv_kernelILb1ELi64ELi16EPKfPKS1_PKPfEviiT2_lT3_lllS8_lllS7_lT4_llli.num_named_barrier, 0
	.set _ZL19rocblas_sbmv_kernelILb1ELi64ELi16EPKfPKS1_PKPfEviiT2_lT3_lllS8_lllS7_lT4_llli.private_seg_size, 0
	.set _ZL19rocblas_sbmv_kernelILb1ELi64ELi16EPKfPKS1_PKPfEviiT2_lT3_lllS8_lllS7_lT4_llli.uses_vcc, 1
	.set _ZL19rocblas_sbmv_kernelILb1ELi64ELi16EPKfPKS1_PKPfEviiT2_lT3_lllS8_lllS7_lT4_llli.uses_flat_scratch, 0
	.set _ZL19rocblas_sbmv_kernelILb1ELi64ELi16EPKfPKS1_PKPfEviiT2_lT3_lllS8_lllS7_lT4_llli.has_dyn_sized_stack, 0
	.set _ZL19rocblas_sbmv_kernelILb1ELi64ELi16EPKfPKS1_PKPfEviiT2_lT3_lllS8_lllS7_lT4_llli.has_recursion, 0
	.set _ZL19rocblas_sbmv_kernelILb1ELi64ELi16EPKfPKS1_PKPfEviiT2_lT3_lllS8_lllS7_lT4_llli.has_indirect_call, 0
	.section	.AMDGPU.csdata,"",@progbits
; Kernel info:
; codeLenInByte = 1456
; TotalNumSgprs: 43
; NumVgprs: 34
; ScratchSize: 0
; MemoryBound: 0
; FloatMode: 240
; IeeeMode: 1
; LDSByteSize: 4096 bytes/workgroup (compile time only)
; SGPRBlocks: 0
; VGPRBlocks: 2
; NumSGPRsForWavesPerEU: 43
; NumVGPRsForWavesPerEU: 34
; NamedBarCnt: 0
; Occupancy: 16
; WaveLimiterHint : 1
; COMPUTE_PGM_RSRC2:SCRATCH_EN: 0
; COMPUTE_PGM_RSRC2:USER_SGPR: 2
; COMPUTE_PGM_RSRC2:TRAP_HANDLER: 0
; COMPUTE_PGM_RSRC2:TGID_X_EN: 1
; COMPUTE_PGM_RSRC2:TGID_Y_EN: 0
; COMPUTE_PGM_RSRC2:TGID_Z_EN: 1
; COMPUTE_PGM_RSRC2:TIDIG_COMP_CNT: 1
	.section	.text._ZL19rocblas_sbmv_kernelILb0ELi64ELi16EPKfPKS1_PKPfEviiT2_lT3_lllS8_lllS7_lT4_llli,"axG",@progbits,_ZL19rocblas_sbmv_kernelILb0ELi64ELi16EPKfPKS1_PKPfEviiT2_lT3_lllS8_lllS7_lT4_llli,comdat
	.globl	_ZL19rocblas_sbmv_kernelILb0ELi64ELi16EPKfPKS1_PKPfEviiT2_lT3_lllS8_lllS7_lT4_llli ; -- Begin function _ZL19rocblas_sbmv_kernelILb0ELi64ELi16EPKfPKS1_PKPfEviiT2_lT3_lllS8_lllS7_lT4_llli
	.p2align	8
	.type	_ZL19rocblas_sbmv_kernelILb0ELi64ELi16EPKfPKS1_PKPfEviiT2_lT3_lllS8_lllS7_lT4_llli,@function
_ZL19rocblas_sbmv_kernelILb0ELi64ELi16EPKfPKS1_PKPfEviiT2_lT3_lllS8_lllS7_lT4_llli: ; @_ZL19rocblas_sbmv_kernelILb0ELi64ELi16EPKfPKS1_PKPfEviiT2_lT3_lllS8_lllS7_lT4_llli
; %bb.0:
	s_clause 0x1
	s_load_b64 s[4:5], s[0:1], 0x9c
	s_load_b32 s33, s[0:1], 0x88
	s_bfe_u32 s2, ttmp6, 0x40014
	s_lshr_b32 s6, ttmp7, 16
	s_add_co_i32 s2, s2, 1
	s_bfe_u32 s3, ttmp6, 0x40008
	s_mul_i32 s7, s6, s2
	s_getreg_b32 s2, hwreg(HW_REG_IB_STS2, 6, 4)
	s_add_co_i32 s7, s3, s7
	s_mov_b32 s25, 0
	s_wait_kmcnt 0x0
	s_lshr_b32 s8, s4, 16
	s_and_b32 s3, s4, 0xffff
	s_and_b32 s4, s5, 0xffff
	s_mul_i32 s5, s8, s3
	s_cmp_eq_u32 s2, 0
	s_mul_i32 s5, s5, s4
	s_cselect_b32 s24, s6, s7
	s_cmp_lg_u32 s5, 0x400
	s_cselect_b32 s4, -1, 0
	s_cmp_ge_u32 s24, s33
	s_cselect_b32 s5, -1, 0
	s_delay_alu instid0(SALU_CYCLE_1) | instskip(NEXT) | instid1(SALU_CYCLE_1)
	s_or_b32 s4, s4, s5
	s_and_b32 vcc_lo, exec_lo, s4
	s_cbranch_vccnz .LBB9_38
; %bb.1:
	s_bfe_u32 s6, ttmp6, 0x4000c
	s_load_b64 s[4:5], s[0:1], 0x78
	s_add_co_i32 s6, s6, 1
	v_and_b32_e32 v1, 0x3ff, v0
	v_bfe_u32 v0, v0, 10, 10
	s_clause 0x1
	s_load_b64 s[30:31], s[0:1], 0x28
	s_load_b128 s[20:23], s[0:1], 0x38
	s_and_b32 s7, ttmp6, 15
	s_mul_i32 s6, ttmp9, s6
	v_mad_u32_u24 v7, v0, s3, v1
	s_add_co_i32 s7, s7, s6
	s_cmp_eq_u32 s2, 0
	s_load_b64 s[26:27], s[0:1], 0x0
	s_cselect_b32 s2, ttmp9, s7
	s_load_b256 s[12:19], s[0:1], 0x58
	s_lshl_b32 s2, s2, 6
	s_load_b64 s[28:29], s[0:1], 0x48
	v_and_or_b32 v0, v7, 63, s2
	v_dual_add_nc_u32 v10, s2, v7 :: v_dual_lshrrev_b32 v6, 6, v7
	v_cmp_gt_u32_e32 vcc_lo, 64, v7
	s_delay_alu instid0(VALU_DEP_2) | instskip(NEXT) | instid1(VALU_DEP_3)
	v_dual_ashrrev_i32 v1, 31, v0 :: v_dual_ashrrev_i32 v11, 31, v10
	v_sub_nc_u32_e32 v13, v0, v6
	s_wait_kmcnt 0x0
	s_lshl_b64 s[2:3], s[30:31], 2
	s_lshl_b64 s[22:23], s[22:23], 2
	v_mul_u64_e32 v[4:5], s[30:31], v[0:1]
	v_mul_u64_e32 v[2:3], s[4:5], v[10:11]
	v_lshlrev_b64_e32 v[8:9], 2, v[0:1]
	s_add_nc_u64 s[2:3], s[2:3], -4
	s_load_b256 s[4:11], s[0:1], 0x8
	v_dual_lshlrev_b32 v1, 2, v7 :: v_dual_mov_b32 v11, 0
	s_wait_xcnt 0x0
	v_cmp_gt_i32_e64 s0, s26, v6
	v_cmp_gt_i32_e64 s1, s26, v0
	v_mad_nc_u64_u32 v[8:9], v6, s2, v[8:9]
	v_cmp_gt_i32_e64 s2, s26, v10
	v_dual_mov_b32 v7, v11 :: v_dual_sub_nc_u32 v12, 0, v0
	s_lshl_b64 s[18:19], s[18:19], 2
	s_and_b32 s34, vcc_lo, s2
	v_mad_u32 v9, v6, s3, v9
	s_lshl_b64 s[2:3], s[30:31], 6
	s_mov_b64 s[30:31], 0xffffffffffffffc0
	s_delay_alu instid0(SALU_CYCLE_1)
	s_add_nc_u64 s[30:31], s[2:3], s[30:31]
	s_wait_kmcnt 0x0
	s_lshl_b64 s[10:11], s[10:11], 2
	s_branch .LBB9_4
.LBB9_2:                                ;   in Loop: Header=BB9_4 Depth=1
	s_wait_xcnt 0x0
	s_or_b32 exec_lo, exec_lo, s3
.LBB9_3:                                ;   in Loop: Header=BB9_4 Depth=1
	s_add_co_i32 s24, s24, 0x10000
	s_delay_alu instid0(SALU_CYCLE_1)
	s_cmp_lt_u32 s24, s33
	s_cbranch_scc0 .LBB9_38
.LBB9_4:                                ; =>This Loop Header: Depth=1
                                        ;     Child Loop BB9_21 Depth 2
	s_mul_u64 s[2:3], s[6:7], s[24:25]
	s_wait_xcnt 0x0
	s_mul_u64 s[36:37], s[14:15], s[24:25]
	s_lshl_b64 s[2:3], s[2:3], 2
	s_lshl_b64 s[36:37], s[36:37], 2
	s_add_nc_u64 s[2:3], s[4:5], s[2:3]
	s_add_nc_u64 s[36:37], s[12:13], s[36:37]
	s_clause 0x1
	global_load_b32 v28, v11, s[2:3]
	global_load_b32 v10, v11, s[36:37]
	s_wait_loadcnt 0x1
	s_wait_xcnt 0x1
	v_cmp_eq_f32_e64 s2, 0, v28
	s_wait_loadcnt 0x0
	v_cmp_eq_f32_e32 vcc_lo, 1.0, v10
	v_readfirstlane_b32 s35, v10
	s_and_b32 s3, s2, vcc_lo
	s_delay_alu instid0(SALU_CYCLE_1)
	s_and_b32 vcc_lo, exec_lo, s3
	s_cbranch_vccnz .LBB9_3
; %bb.5:                                ;   in Loop: Header=BB9_4 Depth=1
	v_mov_b64_e32 v[16:17], 0
	v_mov_b64_e32 v[20:21], 0
	v_cmp_neq_f32_e64 s3, 0, v28
	s_and_b32 vcc_lo, exec_lo, s2
	s_cbranch_vccnz .LBB9_7
; %bb.6:                                ;   in Loop: Header=BB9_4 Depth=1
	s_wait_xcnt 0x0
	s_lshl_b64 s[36:37], s[24:25], 3
	s_delay_alu instid0(SALU_CYCLE_1)
	s_add_nc_u64 s[36:37], s[8:9], s[36:37]
	global_load_b64 v[14:15], v11, s[36:37]
	s_wait_loadcnt 0x0
	v_add_nc_u64_e32 v[20:21], s[10:11], v[14:15]
.LBB9_7:                                ;   in Loop: Header=BB9_4 Depth=1
	s_and_not1_b32 vcc_lo, exec_lo, s3
	s_cbranch_vccnz .LBB9_9
; %bb.8:                                ;   in Loop: Header=BB9_4 Depth=1
	s_wait_xcnt 0x0
	s_lshl_b64 s[36:37], s[24:25], 3
	s_delay_alu instid0(SALU_CYCLE_1)
	s_add_nc_u64 s[36:37], s[20:21], s[36:37]
	global_load_b64 v[14:15], v11, s[36:37]
	s_wait_loadcnt 0x0
	v_add_nc_u64_e32 v[16:17], s[22:23], v[14:15]
.LBB9_9:                                ;   in Loop: Header=BB9_4 Depth=1
	s_wait_xcnt 0x0
	s_lshl_b64 s[36:37], s[24:25], 3
	s_and_not1_b32 vcc_lo, exec_lo, s2
	s_add_nc_u64 s[36:37], s[16:17], s[36:37]
	global_load_b64 v[14:15], v11, s[36:37]
	s_wait_loadcnt 0x0
	v_add_nc_u64_e32 v[14:15], s[18:19], v[14:15]
	s_cbranch_vccnz .LBB9_13
; %bb.10:                               ;   in Loop: Header=BB9_4 Depth=1
	s_mov_b32 s3, 0
	s_mov_b32 s2, 0
                                        ; implicit-def: $vgpr10
	s_wait_xcnt 0x0
	s_and_saveexec_b32 s36, s34
	s_cbranch_execz .LBB9_14
; %bb.11:                               ;   in Loop: Header=BB9_4 Depth=1
	s_cmp_eq_f32 s35, 0
	s_cbranch_scc1 .LBB9_15
; %bb.12:                               ;   in Loop: Header=BB9_4 Depth=1
	v_lshl_add_u64 v[18:19], v[2:3], 2, v[14:15]
	flat_load_b32 v10, v[18:19]
	s_wait_loadcnt_dscnt 0x0
	v_mul_f32_e32 v10, s35, v10
	s_branch .LBB9_16
.LBB9_13:                               ;   in Loop: Header=BB9_4 Depth=1
	s_mov_b32 s2, 0
                                        ; implicit-def: $vgpr10
	s_cbranch_execnz .LBB9_17
	s_branch .LBB9_36
.LBB9_14:                               ;   in Loop: Header=BB9_4 Depth=1
	s_or_b32 exec_lo, exec_lo, s36
	s_delay_alu instid0(SALU_CYCLE_1)
	s_and_b32 vcc_lo, exec_lo, s3
	s_cbranch_vccnz .LBB9_17
	s_branch .LBB9_36
.LBB9_15:                               ;   in Loop: Header=BB9_4 Depth=1
	v_mov_b32_e32 v10, 0
.LBB9_16:                               ;   in Loop: Header=BB9_4 Depth=1
	s_mov_b32 s2, exec_lo
	s_wait_xcnt 0x0
	s_or_b32 exec_lo, exec_lo, s36
	s_delay_alu instid0(SALU_CYCLE_1)
	s_and_b32 vcc_lo, exec_lo, s3
	s_cbranch_vccz .LBB9_36
.LBB9_17:                               ;   in Loop: Header=BB9_4 Depth=1
	v_mov_b32_e32 v29, 0
	s_wait_xcnt 0x0
	s_and_saveexec_b32 s3, s0
	s_cbranch_execz .LBB9_31
; %bb.18:                               ;   in Loop: Header=BB9_4 Depth=1
	v_lshl_add_u64 v[18:19], v[4:5], 2, v[20:21]
	v_add_nc_u64_e32 v[20:21], v[20:21], v[8:9]
	v_mov_b64_e32 v[22:23], v[6:7]
	v_dual_mov_b32 v29, 0 :: v_dual_mov_b32 v30, v13
	v_mov_b32_e32 v10, v6
	s_mov_b32 s36, 0
	s_branch .LBB9_21
.LBB9_19:                               ;   in Loop: Header=BB9_21 Depth=2
	s_wait_xcnt 0x0
	s_or_b32 exec_lo, exec_lo, s39
.LBB9_20:                               ;   in Loop: Header=BB9_21 Depth=2
	s_delay_alu instid0(SALU_CYCLE_1) | instskip(SKIP_4) | instid1(VALU_DEP_4)
	s_or_b32 exec_lo, exec_lo, s37
	v_add_nc_u64_e32 v[22:23], 16, v[22:23]
	v_add_nc_u64_e32 v[20:21], s[30:31], v[20:21]
	v_add_nc_u32_e32 v10, 16, v10
	v_add_nc_u32_e32 v30, -16, v30
	v_cmp_le_i32_e32 vcc_lo, s26, v22
	s_or_b32 s36, vcc_lo, s36
	s_delay_alu instid0(SALU_CYCLE_1)
	s_and_not1_b32 exec_lo, exec_lo, s36
	s_cbranch_execz .LBB9_30
.LBB9_21:                               ;   Parent Loop BB9_4 Depth=1
                                        ; =>  This Inner Loop Header: Depth=2
	s_and_saveexec_b32 s37, s1
	s_cbranch_execz .LBB9_20
; %bb.22:                               ;   in Loop: Header=BB9_21 Depth=2
	s_mov_b32 s38, 0
	s_mov_b32 s39, exec_lo
	v_cmpx_ge_i32_e64 v0, v22
	s_xor_b32 s39, exec_lo, s39
; %bb.23:                               ;   in Loop: Header=BB9_21 Depth=2
	v_cmp_ge_i32_e32 vcc_lo, s27, v30
	s_and_b32 s38, vcc_lo, exec_lo
; %bb.24:                               ;   in Loop: Header=BB9_21 Depth=2
	s_or_saveexec_b32 s39, s39
	v_mov_b64_e32 v[24:25], v[20:21]
	v_mov_b64_e32 v[26:27], v[22:23]
	s_xor_b32 exec_lo, exec_lo, s39
	s_cbranch_execz .LBB9_28
; %bb.25:                               ;   in Loop: Header=BB9_21 Depth=2
	v_add_nc_u32_e32 v24, v12, v22
	s_mov_b32 s41, s38
                                        ; implicit-def: $vgpr26_vgpr27
	s_delay_alu instid0(VALU_DEP_1)
	v_cmp_ge_i32_e32 vcc_lo, s27, v24
                                        ; implicit-def: $vgpr24_vgpr25
	s_and_saveexec_b32 s40, vcc_lo
; %bb.26:                               ;   in Loop: Header=BB9_21 Depth=2
	v_sub_nc_u32_e32 v24, v10, v0
	v_mov_b64_e32 v[26:27], v[10:11]
	s_or_b32 s41, s38, exec_lo
	s_delay_alu instid0(VALU_DEP_2) | instskip(NEXT) | instid1(VALU_DEP_1)
	v_ashrrev_i32_e32 v25, 31, v24
	v_lshl_add_u64 v[24:25], v[24:25], 2, v[18:19]
; %bb.27:                               ;   in Loop: Header=BB9_21 Depth=2
	s_or_b32 exec_lo, exec_lo, s40
	s_delay_alu instid0(SALU_CYCLE_1) | instskip(SKIP_1) | instid1(SALU_CYCLE_1)
	s_and_not1_b32 s38, s38, exec_lo
	s_and_b32 s40, s41, exec_lo
	s_or_b32 s38, s38, s40
.LBB9_28:                               ;   in Loop: Header=BB9_21 Depth=2
	s_or_b32 exec_lo, exec_lo, s39
	s_and_saveexec_b32 s39, s38
	s_cbranch_execz .LBB9_19
; %bb.29:                               ;   in Loop: Header=BB9_21 Depth=2
	s_delay_alu instid0(VALU_DEP_1) | instskip(NEXT) | instid1(VALU_DEP_1)
	v_mul_u64_e32 v[26:27], s[28:29], v[26:27]
	v_lshl_add_u64 v[26:27], v[26:27], 2, v[16:17]
	flat_load_b32 v31, v[24:25]
	flat_load_b32 v32, v[26:27]
	s_wait_loadcnt_dscnt 0x0
	v_fmac_f32_e32 v29, v31, v32
	s_branch .LBB9_19
.LBB9_30:                               ;   in Loop: Header=BB9_4 Depth=1
	s_or_b32 exec_lo, exec_lo, s36
.LBB9_31:                               ;   in Loop: Header=BB9_4 Depth=1
	s_delay_alu instid0(SALU_CYCLE_1)
	s_or_b32 exec_lo, exec_lo, s3
	ds_store_b32 v1, v29
	s_wait_dscnt 0x0
	s_barrier_signal -1
	s_barrier_wait -1
                                        ; implicit-def: $vgpr10
	s_and_saveexec_b32 s3, s34
	s_cbranch_execz .LBB9_35
; %bb.32:                               ;   in Loop: Header=BB9_4 Depth=1
	ds_load_2addr_stride64_b32 v[16:17], v1 offset1:1
	ds_load_2addr_stride64_b32 v[18:19], v1 offset0:2 offset1:3
	ds_load_2addr_stride64_b32 v[20:21], v1 offset0:4 offset1:5
	ds_load_2addr_stride64_b32 v[22:23], v1 offset0:6 offset1:7
	s_cmp_eq_f32 s35, 0
	s_wait_dscnt 0x3
	v_add_f32_e32 v10, v16, v17
	ds_load_2addr_stride64_b32 v[16:17], v1 offset0:8 offset1:9
	s_wait_dscnt 0x3
	v_add_f32_e32 v10, v18, v10
	s_delay_alu instid0(VALU_DEP_1) | instskip(SKIP_3) | instid1(VALU_DEP_1)
	v_add_f32_e32 v10, v19, v10
	ds_load_2addr_stride64_b32 v[18:19], v1 offset0:10 offset1:11
	s_wait_dscnt 0x3
	v_add_f32_e32 v10, v20, v10
	v_add_f32_e32 v10, v21, v10
	s_wait_dscnt 0x2
	s_delay_alu instid0(VALU_DEP_1) | instskip(NEXT) | instid1(VALU_DEP_1)
	v_add_f32_e32 v10, v22, v10
	v_add_f32_e32 v10, v23, v10
	ds_load_2addr_stride64_b32 v[20:21], v1 offset0:12 offset1:13
	ds_load_2addr_stride64_b32 v[22:23], v1 offset0:14 offset1:15
	s_wait_dscnt 0x3
	v_add_f32_e32 v10, v16, v10
	s_delay_alu instid0(VALU_DEP_1) | instskip(SKIP_1) | instid1(VALU_DEP_1)
	v_add_f32_e32 v10, v17, v10
	s_wait_dscnt 0x2
	v_add_f32_e32 v10, v18, v10
	s_delay_alu instid0(VALU_DEP_1) | instskip(SKIP_1) | instid1(VALU_DEP_1)
	v_add_f32_e32 v10, v19, v10
	;; [unrolled: 4-line block ×3, first 2 shown]
	s_wait_dscnt 0x0
	v_add_f32_e32 v10, v22, v10
	s_delay_alu instid0(VALU_DEP_1) | instskip(NEXT) | instid1(VALU_DEP_1)
	v_add_f32_e32 v16, v23, v10
	v_mul_f32_e32 v10, v28, v16
	ds_store_b32 v1, v16
	s_cbranch_scc1 .LBB9_34
; %bb.33:                               ;   in Loop: Header=BB9_4 Depth=1
	v_lshl_add_u64 v[16:17], v[2:3], 2, v[14:15]
	flat_load_b32 v16, v[16:17]
	s_wait_loadcnt_dscnt 0x0
	v_fmac_f32_e32 v10, s35, v16
.LBB9_34:                               ;   in Loop: Header=BB9_4 Depth=1
	s_or_b32 s2, s2, exec_lo
.LBB9_35:                               ;   in Loop: Header=BB9_4 Depth=1
	s_wait_xcnt 0x0
	s_or_b32 exec_lo, exec_lo, s3
.LBB9_36:                               ;   in Loop: Header=BB9_4 Depth=1
	s_wait_xcnt 0x0
	s_and_saveexec_b32 s3, s2
	s_cbranch_execz .LBB9_2
; %bb.37:                               ;   in Loop: Header=BB9_4 Depth=1
	v_lshl_add_u64 v[14:15], v[2:3], 2, v[14:15]
	flat_store_b32 v[14:15], v10
	s_branch .LBB9_2
.LBB9_38:
	s_endpgm
	.section	.rodata,"a",@progbits
	.p2align	6, 0x0
	.amdhsa_kernel _ZL19rocblas_sbmv_kernelILb0ELi64ELi16EPKfPKS1_PKPfEviiT2_lT3_lllS8_lllS7_lT4_llli
		.amdhsa_group_segment_fixed_size 4096
		.amdhsa_private_segment_fixed_size 0
		.amdhsa_kernarg_size 400
		.amdhsa_user_sgpr_count 2
		.amdhsa_user_sgpr_dispatch_ptr 0
		.amdhsa_user_sgpr_queue_ptr 0
		.amdhsa_user_sgpr_kernarg_segment_ptr 1
		.amdhsa_user_sgpr_dispatch_id 0
		.amdhsa_user_sgpr_kernarg_preload_length 0
		.amdhsa_user_sgpr_kernarg_preload_offset 0
		.amdhsa_user_sgpr_private_segment_size 0
		.amdhsa_wavefront_size32 1
		.amdhsa_uses_dynamic_stack 0
		.amdhsa_enable_private_segment 0
		.amdhsa_system_sgpr_workgroup_id_x 1
		.amdhsa_system_sgpr_workgroup_id_y 0
		.amdhsa_system_sgpr_workgroup_id_z 1
		.amdhsa_system_sgpr_workgroup_info 0
		.amdhsa_system_vgpr_workitem_id 1
		.amdhsa_next_free_vgpr 33
		.amdhsa_next_free_sgpr 42
		.amdhsa_named_barrier_count 0
		.amdhsa_reserve_vcc 1
		.amdhsa_float_round_mode_32 0
		.amdhsa_float_round_mode_16_64 0
		.amdhsa_float_denorm_mode_32 3
		.amdhsa_float_denorm_mode_16_64 3
		.amdhsa_fp16_overflow 0
		.amdhsa_memory_ordered 1
		.amdhsa_forward_progress 1
		.amdhsa_inst_pref_size 12
		.amdhsa_round_robin_scheduling 0
		.amdhsa_exception_fp_ieee_invalid_op 0
		.amdhsa_exception_fp_denorm_src 0
		.amdhsa_exception_fp_ieee_div_zero 0
		.amdhsa_exception_fp_ieee_overflow 0
		.amdhsa_exception_fp_ieee_underflow 0
		.amdhsa_exception_fp_ieee_inexact 0
		.amdhsa_exception_int_div_zero 0
	.end_amdhsa_kernel
	.section	.text._ZL19rocblas_sbmv_kernelILb0ELi64ELi16EPKfPKS1_PKPfEviiT2_lT3_lllS8_lllS7_lT4_llli,"axG",@progbits,_ZL19rocblas_sbmv_kernelILb0ELi64ELi16EPKfPKS1_PKPfEviiT2_lT3_lllS8_lllS7_lT4_llli,comdat
.Lfunc_end9:
	.size	_ZL19rocblas_sbmv_kernelILb0ELi64ELi16EPKfPKS1_PKPfEviiT2_lT3_lllS8_lllS7_lT4_llli, .Lfunc_end9-_ZL19rocblas_sbmv_kernelILb0ELi64ELi16EPKfPKS1_PKPfEviiT2_lT3_lllS8_lllS7_lT4_llli
                                        ; -- End function
	.set _ZL19rocblas_sbmv_kernelILb0ELi64ELi16EPKfPKS1_PKPfEviiT2_lT3_lllS8_lllS7_lT4_llli.num_vgpr, 33
	.set _ZL19rocblas_sbmv_kernelILb0ELi64ELi16EPKfPKS1_PKPfEviiT2_lT3_lllS8_lllS7_lT4_llli.num_agpr, 0
	.set _ZL19rocblas_sbmv_kernelILb0ELi64ELi16EPKfPKS1_PKPfEviiT2_lT3_lllS8_lllS7_lT4_llli.numbered_sgpr, 42
	.set _ZL19rocblas_sbmv_kernelILb0ELi64ELi16EPKfPKS1_PKPfEviiT2_lT3_lllS8_lllS7_lT4_llli.num_named_barrier, 0
	.set _ZL19rocblas_sbmv_kernelILb0ELi64ELi16EPKfPKS1_PKPfEviiT2_lT3_lllS8_lllS7_lT4_llli.private_seg_size, 0
	.set _ZL19rocblas_sbmv_kernelILb0ELi64ELi16EPKfPKS1_PKPfEviiT2_lT3_lllS8_lllS7_lT4_llli.uses_vcc, 1
	.set _ZL19rocblas_sbmv_kernelILb0ELi64ELi16EPKfPKS1_PKPfEviiT2_lT3_lllS8_lllS7_lT4_llli.uses_flat_scratch, 0
	.set _ZL19rocblas_sbmv_kernelILb0ELi64ELi16EPKfPKS1_PKPfEviiT2_lT3_lllS8_lllS7_lT4_llli.has_dyn_sized_stack, 0
	.set _ZL19rocblas_sbmv_kernelILb0ELi64ELi16EPKfPKS1_PKPfEviiT2_lT3_lllS8_lllS7_lT4_llli.has_recursion, 0
	.set _ZL19rocblas_sbmv_kernelILb0ELi64ELi16EPKfPKS1_PKPfEviiT2_lT3_lllS8_lllS7_lT4_llli.has_indirect_call, 0
	.section	.AMDGPU.csdata,"",@progbits
; Kernel info:
; codeLenInByte = 1436
; TotalNumSgprs: 44
; NumVgprs: 33
; ScratchSize: 0
; MemoryBound: 0
; FloatMode: 240
; IeeeMode: 1
; LDSByteSize: 4096 bytes/workgroup (compile time only)
; SGPRBlocks: 0
; VGPRBlocks: 2
; NumSGPRsForWavesPerEU: 44
; NumVGPRsForWavesPerEU: 33
; NamedBarCnt: 0
; Occupancy: 16
; WaveLimiterHint : 1
; COMPUTE_PGM_RSRC2:SCRATCH_EN: 0
; COMPUTE_PGM_RSRC2:USER_SGPR: 2
; COMPUTE_PGM_RSRC2:TRAP_HANDLER: 0
; COMPUTE_PGM_RSRC2:TGID_X_EN: 1
; COMPUTE_PGM_RSRC2:TGID_Y_EN: 0
; COMPUTE_PGM_RSRC2:TGID_Z_EN: 1
; COMPUTE_PGM_RSRC2:TIDIG_COMP_CNT: 1
	.section	.text._ZL19rocblas_sbmv_kernelILb1ELi64ELi16EfPKPKfPKPfEviiT2_lT3_lllS8_lllS7_lT4_llli,"axG",@progbits,_ZL19rocblas_sbmv_kernelILb1ELi64ELi16EfPKPKfPKPfEviiT2_lT3_lllS8_lllS7_lT4_llli,comdat
	.globl	_ZL19rocblas_sbmv_kernelILb1ELi64ELi16EfPKPKfPKPfEviiT2_lT3_lllS8_lllS7_lT4_llli ; -- Begin function _ZL19rocblas_sbmv_kernelILb1ELi64ELi16EfPKPKfPKPfEviiT2_lT3_lllS8_lllS7_lT4_llli
	.p2align	8
	.type	_ZL19rocblas_sbmv_kernelILb1ELi64ELi16EfPKPKfPKPfEviiT2_lT3_lllS8_lllS7_lT4_llli,@function
_ZL19rocblas_sbmv_kernelILb1ELi64ELi16EfPKPKfPKPfEviiT2_lT3_lllS8_lllS7_lT4_llli: ; @_ZL19rocblas_sbmv_kernelILb1ELi64ELi16EfPKPKfPKPfEviiT2_lT3_lllS8_lllS7_lT4_llli
; %bb.0:
	s_clause 0x1
	s_load_b64 s[4:5], s[0:1], 0x9c
	s_load_b32 s19, s[0:1], 0x88
	s_bfe_u32 s2, ttmp6, 0x40014
	s_lshr_b32 s6, ttmp7, 16
	s_add_co_i32 s2, s2, 1
	s_bfe_u32 s3, ttmp6, 0x40008
	s_mul_i32 s7, s6, s2
	s_getreg_b32 s2, hwreg(HW_REG_IB_STS2, 6, 4)
	s_add_co_i32 s7, s3, s7
	s_mov_b32 s21, 0
	s_wait_kmcnt 0x0
	s_lshr_b32 s8, s4, 16
	s_and_b32 s3, s4, 0xffff
	s_and_b32 s4, s5, 0xffff
	s_mul_i32 s5, s8, s3
	s_cmp_eq_u32 s2, 0
	s_mul_i32 s5, s5, s4
	s_cselect_b32 s20, s6, s7
	s_cmp_lg_u32 s5, 0x400
	s_cselect_b32 s4, -1, 0
	s_cmp_ge_u32 s20, s19
	s_cselect_b32 s5, -1, 0
	s_delay_alu instid0(SALU_CYCLE_1) | instskip(NEXT) | instid1(SALU_CYCLE_1)
	s_or_b32 s4, s4, s5
	s_and_b32 vcc_lo, exec_lo, s4
	s_cbranch_vccnz .LBB10_40
; %bb.1:
	s_clause 0x2
	s_load_b96 s[16:18], s[0:1], 0x0
	s_load_b32 s24, s[0:1], 0x58
	s_load_b128 s[4:7], s[0:1], 0x18
	v_and_b32_e32 v2, 0x3ff, v0
	v_bfe_u32 v0, v0, 10, 10
	s_clause 0x2
	s_load_b64 s[22:23], s[0:1], 0x28
	s_load_b64 s[28:29], s[0:1], 0x78
	s_load_b128 s[12:15], s[0:1], 0x68
	v_mad_u32_u24 v0, v0, s3, v2
	s_delay_alu instid0(VALU_DEP_1) | instskip(NEXT) | instid1(VALU_DEP_1)
	v_dual_mov_b32 v1, 0 :: v_dual_lshrrev_b32 v2, 6, v0
	v_dual_mov_b32 v3, v1 :: v_dual_bitop2_b32 v12, 63, v0 bitop3:0x40
	v_cmp_gt_u32_e32 vcc_lo, 64, v0
	s_wait_kmcnt 0x0
	s_cmp_eq_f32 s18, 0
	s_cselect_b32 s25, -1, 0
	s_cmp_neq_f32 s24, 1.0
	s_cselect_b32 s3, -1, 0
	s_cmp_neq_f32 s18, 0
	s_cselect_b32 s8, -1, 0
	s_bfe_u32 s9, ttmp6, 0x4000c
	s_and_b32 s10, ttmp6, 15
	s_add_co_i32 s9, s9, 1
	s_or_b32 s26, s8, s3
	s_mul_i32 s9, ttmp9, s9
	v_cndmask_b32_e64 v13, 0, 1, s8
	s_add_co_i32 s10, s10, s9
	s_cmp_eq_u32 s2, 0
	s_cselect_b32 s2, ttmp9, s10
	s_load_b128 s[8:11], s[0:1], 0x38
	s_lshl_b32 s30, s2, 6
	v_mul_u64_e32 v[10:11], s[22:23], v[2:3]
	v_add_nc_u32_e32 v14, s30, v0
	v_or_b32_e32 v4, s30, v12
	s_delay_alu instid0(VALU_DEP_1) | instskip(NEXT) | instid1(VALU_DEP_1)
	v_ashrrev_i32_e32 v5, 31, v4
	v_mul_u64_e32 v[8:9], s[22:23], v[4:5]
	s_delay_alu instid0(VALU_DEP_4) | instskip(SKIP_1) | instid1(VALU_DEP_2)
	v_dual_lshlrev_b32 v5, 2, v0 :: v_dual_ashrrev_i32 v15, 31, v14
	v_cmp_gt_i32_e64 s2, s16, v14
	v_mul_u64_e32 v[6:7], s[28:29], v[14:15]
	s_and_b32 s27, vcc_lo, s2
	s_load_b64 s[2:3], s[0:1], 0x48
	v_add3_u32 v14, s17, s30, v12
	v_sub_nc_u32_e32 v12, s17, v12
	s_cmp_neq_f32 s24, 0
	s_wait_xcnt 0x0
	v_cmp_gt_i32_e64 s0, s16, v2
	v_cmp_gt_i32_e64 s1, s16, v4
	v_sub_nc_u32_e32 v32, v14, v2
	v_subrev_nc_u32_e32 v12, s30, v12
	s_cselect_b32 s28, -1, 0
	s_lshl_b64 s[22:23], s[22:23], 6
	s_lshl_b64 s[6:7], s[6:7], 2
	v_lshlrev_b64_e32 v[10:11], 2, v[10:11]
	s_wait_kmcnt 0x0
	s_lshl_b64 s[10:11], s[10:11], 2
	s_lshl_b64 s[14:15], s[14:15], 2
	s_branch .LBB10_4
.LBB10_2:                               ;   in Loop: Header=BB10_4 Depth=1
	s_wait_xcnt 0x0
	s_or_b32 exec_lo, exec_lo, s29
.LBB10_3:                               ;   in Loop: Header=BB10_4 Depth=1
	s_add_co_i32 s20, s20, 0x10000
	s_delay_alu instid0(SALU_CYCLE_1)
	s_cmp_lt_u32 s20, s19
	s_cbranch_scc0 .LBB10_40
.LBB10_4:                               ; =>This Loop Header: Depth=1
                                        ;     Child Loop BB10_23 Depth 2
	s_and_not1_b32 vcc_lo, exec_lo, s26
	s_cbranch_vccnz .LBB10_3
; %bb.5:                                ;   in Loop: Header=BB10_4 Depth=1
	s_and_not1_b32 vcc_lo, exec_lo, s25
	s_cbranch_vccnz .LBB10_7
; %bb.6:                                ;   in Loop: Header=BB10_4 Depth=1
	v_mov_b64_e32 v[16:17], 0
	v_mov_b64_e32 v[20:21], 0
	s_cbranch_execz .LBB10_8
	s_branch .LBB10_9
.LBB10_7:                               ;   in Loop: Header=BB10_4 Depth=1
	v_mov_b64_e32 v[16:17], 0
	v_mov_b64_e32 v[20:21], 0
.LBB10_8:                               ;   in Loop: Header=BB10_4 Depth=1
	s_lshl_b64 s[30:31], s[20:21], 3
	s_delay_alu instid0(SALU_CYCLE_1)
	s_add_nc_u64 s[30:31], s[4:5], s[30:31]
	global_load_b64 v[14:15], v1, s[30:31]
	s_wait_loadcnt 0x0
	v_add_nc_u64_e32 v[20:21], s[6:7], v[14:15]
.LBB10_9:                               ;   in Loop: Header=BB10_4 Depth=1
	v_cmp_ne_u32_e32 vcc_lo, 1, v13
	s_cbranch_vccnz .LBB10_11
; %bb.10:                               ;   in Loop: Header=BB10_4 Depth=1
	s_wait_xcnt 0x0
	s_lshl_b64 s[30:31], s[20:21], 3
	s_delay_alu instid0(SALU_CYCLE_1)
	s_add_nc_u64 s[30:31], s[8:9], s[30:31]
	global_load_b64 v[14:15], v1, s[30:31]
	s_wait_loadcnt 0x0
	v_add_nc_u64_e32 v[16:17], s[10:11], v[14:15]
.LBB10_11:                              ;   in Loop: Header=BB10_4 Depth=1
	s_wait_xcnt 0x0
	s_lshl_b64 s[30:31], s[20:21], 3
	s_and_not1_b32 vcc_lo, exec_lo, s25
	s_add_nc_u64 s[30:31], s[12:13], s[30:31]
	global_load_b64 v[14:15], v1, s[30:31]
	s_wait_loadcnt 0x0
	v_add_nc_u64_e32 v[14:15], s[14:15], v[14:15]
	s_cbranch_vccnz .LBB10_15
; %bb.12:                               ;   in Loop: Header=BB10_4 Depth=1
	s_mov_b32 s29, 0
	s_mov_b32 s17, 0
                                        ; implicit-def: $vgpr0
	s_wait_xcnt 0x0
	s_and_saveexec_b32 s30, s27
	s_cbranch_execz .LBB10_16
; %bb.13:                               ;   in Loop: Header=BB10_4 Depth=1
	s_and_not1_b32 vcc_lo, exec_lo, s28
	s_cbranch_vccnz .LBB10_17
; %bb.14:                               ;   in Loop: Header=BB10_4 Depth=1
	v_lshl_add_u64 v[18:19], v[6:7], 2, v[14:15]
	flat_load_b32 v0, v[18:19]
	s_wait_loadcnt_dscnt 0x0
	v_mul_f32_e32 v0, s24, v0
	s_branch .LBB10_18
.LBB10_15:                              ;   in Loop: Header=BB10_4 Depth=1
	s_mov_b32 s17, 0
                                        ; implicit-def: $vgpr0
	s_cbranch_execnz .LBB10_19
	s_branch .LBB10_38
.LBB10_16:                              ;   in Loop: Header=BB10_4 Depth=1
	s_or_b32 exec_lo, exec_lo, s30
	s_delay_alu instid0(SALU_CYCLE_1)
	s_and_b32 vcc_lo, exec_lo, s29
	s_cbranch_vccnz .LBB10_19
	s_branch .LBB10_38
.LBB10_17:                              ;   in Loop: Header=BB10_4 Depth=1
	v_mov_b32_e32 v0, 0
.LBB10_18:                              ;   in Loop: Header=BB10_4 Depth=1
	s_mov_b32 s17, exec_lo
	s_wait_xcnt 0x0
	s_or_b32 exec_lo, exec_lo, s30
	s_delay_alu instid0(SALU_CYCLE_1)
	s_and_b32 vcc_lo, exec_lo, s29
	s_cbranch_vccz .LBB10_38
.LBB10_19:                              ;   in Loop: Header=BB10_4 Depth=1
	v_mov_b32_e32 v33, 0
	s_wait_xcnt 0x0
	s_and_saveexec_b32 s29, s0
	s_cbranch_execz .LBB10_33
; %bb.20:                               ;   in Loop: Header=BB10_4 Depth=1
	v_lshl_add_u64 v[18:19], v[8:9], 2, v[20:21]
	v_add_nc_u64_e32 v[20:21], v[20:21], v[10:11]
	v_mov_b64_e32 v[22:23], v[2:3]
	v_dual_mov_b32 v33, 0 :: v_dual_mov_b32 v0, v32
	v_mov_b32_e32 v24, v2
	s_mov_b32 s30, 0
	s_branch .LBB10_23
.LBB10_21:                              ;   in Loop: Header=BB10_23 Depth=2
	s_wait_xcnt 0x0
	s_or_b32 exec_lo, exec_lo, s34
.LBB10_22:                              ;   in Loop: Header=BB10_23 Depth=2
	s_delay_alu instid0(SALU_CYCLE_1) | instskip(SKIP_4) | instid1(VALU_DEP_4)
	s_or_b32 exec_lo, exec_lo, s31
	v_add_nc_u64_e32 v[22:23], 16, v[22:23]
	v_add_nc_u64_e32 v[20:21], s[22:23], v[20:21]
	v_add_nc_u32_e32 v24, 16, v24
	v_add_nc_u32_e32 v0, -16, v0
	v_cmp_le_i32_e32 vcc_lo, s16, v22
	s_or_b32 s30, vcc_lo, s30
	s_delay_alu instid0(SALU_CYCLE_1)
	s_and_not1_b32 exec_lo, exec_lo, s30
	s_cbranch_execz .LBB10_32
.LBB10_23:                              ;   Parent Loop BB10_4 Depth=1
                                        ; =>  This Inner Loop Header: Depth=2
	s_and_saveexec_b32 s31, s1
	s_cbranch_execz .LBB10_22
; %bb.24:                               ;   in Loop: Header=BB10_23 Depth=2
	s_mov_b32 s33, 0
	s_mov_b32 s34, exec_lo
                                        ; implicit-def: $vgpr26_vgpr27
	v_cmpx_le_i32_e64 v4, v22
	s_xor_b32 s34, exec_lo, s34
	s_cbranch_execnz .LBB10_27
; %bb.25:                               ;   in Loop: Header=BB10_23 Depth=2
	s_or_saveexec_b32 s34, s34
	v_mov_b64_e32 v[28:29], v[22:23]
	s_xor_b32 exec_lo, exec_lo, s34
	s_cbranch_execnz .LBB10_28
.LBB10_26:                              ;   in Loop: Header=BB10_23 Depth=2
	s_or_b32 exec_lo, exec_lo, s34
	s_and_saveexec_b32 s34, s33
	s_cbranch_execz .LBB10_21
	s_branch .LBB10_31
.LBB10_27:                              ;   in Loop: Header=BB10_23 Depth=2
	v_cmp_lt_i32_e32 vcc_lo, -1, v0
	v_lshl_add_u64 v[26:27], v[0:1], 2, v[20:21]
	s_and_b32 s33, vcc_lo, exec_lo
	s_or_saveexec_b32 s34, s34
	v_mov_b64_e32 v[28:29], v[22:23]
	s_xor_b32 exec_lo, exec_lo, s34
	s_cbranch_execz .LBB10_26
.LBB10_28:                              ;   in Loop: Header=BB10_23 Depth=2
	v_add_nc_u32_e32 v30, v12, v22
	s_mov_b32 s36, s33
	s_mov_b32 s35, exec_lo
                                        ; implicit-def: $vgpr26_vgpr27
                                        ; implicit-def: $vgpr28_vgpr29
	s_delay_alu instid0(VALU_DEP_1)
	v_cmpx_lt_i32_e32 -1, v30
; %bb.29:                               ;   in Loop: Header=BB10_23 Depth=2
	v_dual_mov_b32 v31, v1 :: v_dual_mov_b32 v25, v1
	s_or_b32 s36, s33, exec_lo
	s_delay_alu instid0(VALU_DEP_1) | instskip(NEXT) | instid1(VALU_DEP_2)
	v_lshl_add_u64 v[26:27], v[30:31], 2, v[18:19]
	v_mov_b64_e32 v[28:29], v[24:25]
; %bb.30:                               ;   in Loop: Header=BB10_23 Depth=2
	s_or_b32 exec_lo, exec_lo, s35
	s_delay_alu instid0(SALU_CYCLE_1) | instskip(SKIP_1) | instid1(SALU_CYCLE_1)
	s_and_not1_b32 s33, s33, exec_lo
	s_and_b32 s35, s36, exec_lo
	s_or_b32 s33, s33, s35
	s_or_b32 exec_lo, exec_lo, s34
	s_and_saveexec_b32 s34, s33
	s_cbranch_execz .LBB10_21
.LBB10_31:                              ;   in Loop: Header=BB10_23 Depth=2
	v_mul_u64_e32 v[28:29], s[2:3], v[28:29]
	s_delay_alu instid0(VALU_DEP_1)
	v_lshl_add_u64 v[28:29], v[28:29], 2, v[16:17]
	flat_load_b32 v25, v[26:27]
	flat_load_b32 v30, v[28:29]
	s_wait_loadcnt_dscnt 0x0
	v_fmac_f32_e32 v33, v25, v30
	s_branch .LBB10_21
.LBB10_32:                              ;   in Loop: Header=BB10_4 Depth=1
	s_or_b32 exec_lo, exec_lo, s30
.LBB10_33:                              ;   in Loop: Header=BB10_4 Depth=1
	s_delay_alu instid0(SALU_CYCLE_1)
	s_or_b32 exec_lo, exec_lo, s29
	ds_store_b32 v5, v33
	s_wait_dscnt 0x0
	s_barrier_signal -1
	s_barrier_wait -1
                                        ; implicit-def: $vgpr0
	s_and_saveexec_b32 s29, s27
	s_cbranch_execz .LBB10_37
; %bb.34:                               ;   in Loop: Header=BB10_4 Depth=1
	ds_load_2addr_stride64_b32 v[16:17], v5 offset1:1
	ds_load_2addr_stride64_b32 v[18:19], v5 offset0:2 offset1:3
	ds_load_2addr_stride64_b32 v[20:21], v5 offset0:4 offset1:5
	;; [unrolled: 1-line block ×3, first 2 shown]
	s_and_not1_b32 vcc_lo, exec_lo, s28
	s_wait_dscnt 0x3
	v_add_f32_e32 v0, v16, v17
	ds_load_2addr_stride64_b32 v[16:17], v5 offset0:8 offset1:9
	s_wait_dscnt 0x3
	v_add_f32_e32 v0, v18, v0
	s_delay_alu instid0(VALU_DEP_1) | instskip(SKIP_3) | instid1(VALU_DEP_1)
	v_add_f32_e32 v0, v19, v0
	ds_load_2addr_stride64_b32 v[18:19], v5 offset0:10 offset1:11
	s_wait_dscnt 0x3
	v_add_f32_e32 v0, v20, v0
	v_add_f32_e32 v0, v21, v0
	s_wait_dscnt 0x2
	s_delay_alu instid0(VALU_DEP_1) | instskip(NEXT) | instid1(VALU_DEP_1)
	v_add_f32_e32 v0, v22, v0
	v_add_f32_e32 v0, v23, v0
	ds_load_2addr_stride64_b32 v[20:21], v5 offset0:12 offset1:13
	ds_load_2addr_stride64_b32 v[22:23], v5 offset0:14 offset1:15
	s_wait_dscnt 0x3
	v_add_f32_e32 v0, v16, v0
	s_delay_alu instid0(VALU_DEP_1) | instskip(SKIP_1) | instid1(VALU_DEP_1)
	v_add_f32_e32 v0, v17, v0
	s_wait_dscnt 0x2
	v_add_f32_e32 v0, v18, v0
	s_delay_alu instid0(VALU_DEP_1) | instskip(SKIP_1) | instid1(VALU_DEP_1)
	v_add_f32_e32 v0, v19, v0
	;; [unrolled: 4-line block ×3, first 2 shown]
	s_wait_dscnt 0x0
	v_add_f32_e32 v0, v22, v0
	s_delay_alu instid0(VALU_DEP_1) | instskip(NEXT) | instid1(VALU_DEP_1)
	v_add_f32_e32 v16, v23, v0
	v_mul_f32_e32 v0, s18, v16
	ds_store_b32 v5, v16
	s_cbranch_vccnz .LBB10_36
; %bb.35:                               ;   in Loop: Header=BB10_4 Depth=1
	v_lshl_add_u64 v[16:17], v[6:7], 2, v[14:15]
	flat_load_b32 v16, v[16:17]
	s_wait_loadcnt_dscnt 0x0
	v_fmac_f32_e32 v0, s24, v16
.LBB10_36:                              ;   in Loop: Header=BB10_4 Depth=1
	s_or_b32 s17, s17, exec_lo
.LBB10_37:                              ;   in Loop: Header=BB10_4 Depth=1
	s_wait_xcnt 0x0
	s_or_b32 exec_lo, exec_lo, s29
.LBB10_38:                              ;   in Loop: Header=BB10_4 Depth=1
	s_wait_xcnt 0x0
	s_and_saveexec_b32 s29, s17
	s_cbranch_execz .LBB10_2
; %bb.39:                               ;   in Loop: Header=BB10_4 Depth=1
	v_lshl_add_u64 v[14:15], v[6:7], 2, v[14:15]
	flat_store_b32 v[14:15], v0
	s_branch .LBB10_2
.LBB10_40:
	s_endpgm
	.section	.rodata,"a",@progbits
	.p2align	6, 0x0
	.amdhsa_kernel _ZL19rocblas_sbmv_kernelILb1ELi64ELi16EfPKPKfPKPfEviiT2_lT3_lllS8_lllS7_lT4_llli
		.amdhsa_group_segment_fixed_size 4096
		.amdhsa_private_segment_fixed_size 0
		.amdhsa_kernarg_size 400
		.amdhsa_user_sgpr_count 2
		.amdhsa_user_sgpr_dispatch_ptr 0
		.amdhsa_user_sgpr_queue_ptr 0
		.amdhsa_user_sgpr_kernarg_segment_ptr 1
		.amdhsa_user_sgpr_dispatch_id 0
		.amdhsa_user_sgpr_kernarg_preload_length 0
		.amdhsa_user_sgpr_kernarg_preload_offset 0
		.amdhsa_user_sgpr_private_segment_size 0
		.amdhsa_wavefront_size32 1
		.amdhsa_uses_dynamic_stack 0
		.amdhsa_enable_private_segment 0
		.amdhsa_system_sgpr_workgroup_id_x 1
		.amdhsa_system_sgpr_workgroup_id_y 0
		.amdhsa_system_sgpr_workgroup_id_z 1
		.amdhsa_system_sgpr_workgroup_info 0
		.amdhsa_system_vgpr_workitem_id 1
		.amdhsa_next_free_vgpr 34
		.amdhsa_next_free_sgpr 37
		.amdhsa_named_barrier_count 0
		.amdhsa_reserve_vcc 1
		.amdhsa_float_round_mode_32 0
		.amdhsa_float_round_mode_16_64 0
		.amdhsa_float_denorm_mode_32 3
		.amdhsa_float_denorm_mode_16_64 3
		.amdhsa_fp16_overflow 0
		.amdhsa_memory_ordered 1
		.amdhsa_forward_progress 1
		.amdhsa_inst_pref_size 12
		.amdhsa_round_robin_scheduling 0
		.amdhsa_exception_fp_ieee_invalid_op 0
		.amdhsa_exception_fp_denorm_src 0
		.amdhsa_exception_fp_ieee_div_zero 0
		.amdhsa_exception_fp_ieee_overflow 0
		.amdhsa_exception_fp_ieee_underflow 0
		.amdhsa_exception_fp_ieee_inexact 0
		.amdhsa_exception_int_div_zero 0
	.end_amdhsa_kernel
	.section	.text._ZL19rocblas_sbmv_kernelILb1ELi64ELi16EfPKPKfPKPfEviiT2_lT3_lllS8_lllS7_lT4_llli,"axG",@progbits,_ZL19rocblas_sbmv_kernelILb1ELi64ELi16EfPKPKfPKPfEviiT2_lT3_lllS8_lllS7_lT4_llli,comdat
.Lfunc_end10:
	.size	_ZL19rocblas_sbmv_kernelILb1ELi64ELi16EfPKPKfPKPfEviiT2_lT3_lllS8_lllS7_lT4_llli, .Lfunc_end10-_ZL19rocblas_sbmv_kernelILb1ELi64ELi16EfPKPKfPKPfEviiT2_lT3_lllS8_lllS7_lT4_llli
                                        ; -- End function
	.set _ZL19rocblas_sbmv_kernelILb1ELi64ELi16EfPKPKfPKPfEviiT2_lT3_lllS8_lllS7_lT4_llli.num_vgpr, 34
	.set _ZL19rocblas_sbmv_kernelILb1ELi64ELi16EfPKPKfPKPfEviiT2_lT3_lllS8_lllS7_lT4_llli.num_agpr, 0
	.set _ZL19rocblas_sbmv_kernelILb1ELi64ELi16EfPKPKfPKPfEviiT2_lT3_lllS8_lllS7_lT4_llli.numbered_sgpr, 37
	.set _ZL19rocblas_sbmv_kernelILb1ELi64ELi16EfPKPKfPKPfEviiT2_lT3_lllS8_lllS7_lT4_llli.num_named_barrier, 0
	.set _ZL19rocblas_sbmv_kernelILb1ELi64ELi16EfPKPKfPKPfEviiT2_lT3_lllS8_lllS7_lT4_llli.private_seg_size, 0
	.set _ZL19rocblas_sbmv_kernelILb1ELi64ELi16EfPKPKfPKPfEviiT2_lT3_lllS8_lllS7_lT4_llli.uses_vcc, 1
	.set _ZL19rocblas_sbmv_kernelILb1ELi64ELi16EfPKPKfPKPfEviiT2_lT3_lllS8_lllS7_lT4_llli.uses_flat_scratch, 0
	.set _ZL19rocblas_sbmv_kernelILb1ELi64ELi16EfPKPKfPKPfEviiT2_lT3_lllS8_lllS7_lT4_llli.has_dyn_sized_stack, 0
	.set _ZL19rocblas_sbmv_kernelILb1ELi64ELi16EfPKPKfPKPfEviiT2_lT3_lllS8_lllS7_lT4_llli.has_recursion, 0
	.set _ZL19rocblas_sbmv_kernelILb1ELi64ELi16EfPKPKfPKPfEviiT2_lT3_lllS8_lllS7_lT4_llli.has_indirect_call, 0
	.section	.AMDGPU.csdata,"",@progbits
; Kernel info:
; codeLenInByte = 1428
; TotalNumSgprs: 39
; NumVgprs: 34
; ScratchSize: 0
; MemoryBound: 0
; FloatMode: 240
; IeeeMode: 1
; LDSByteSize: 4096 bytes/workgroup (compile time only)
; SGPRBlocks: 0
; VGPRBlocks: 2
; NumSGPRsForWavesPerEU: 39
; NumVGPRsForWavesPerEU: 34
; NamedBarCnt: 0
; Occupancy: 16
; WaveLimiterHint : 1
; COMPUTE_PGM_RSRC2:SCRATCH_EN: 0
; COMPUTE_PGM_RSRC2:USER_SGPR: 2
; COMPUTE_PGM_RSRC2:TRAP_HANDLER: 0
; COMPUTE_PGM_RSRC2:TGID_X_EN: 1
; COMPUTE_PGM_RSRC2:TGID_Y_EN: 0
; COMPUTE_PGM_RSRC2:TGID_Z_EN: 1
; COMPUTE_PGM_RSRC2:TIDIG_COMP_CNT: 1
	.section	.text._ZL19rocblas_sbmv_kernelILb0ELi64ELi16EfPKPKfPKPfEviiT2_lT3_lllS8_lllS7_lT4_llli,"axG",@progbits,_ZL19rocblas_sbmv_kernelILb0ELi64ELi16EfPKPKfPKPfEviiT2_lT3_lllS8_lllS7_lT4_llli,comdat
	.globl	_ZL19rocblas_sbmv_kernelILb0ELi64ELi16EfPKPKfPKPfEviiT2_lT3_lllS8_lllS7_lT4_llli ; -- Begin function _ZL19rocblas_sbmv_kernelILb0ELi64ELi16EfPKPKfPKPfEviiT2_lT3_lllS8_lllS7_lT4_llli
	.p2align	8
	.type	_ZL19rocblas_sbmv_kernelILb0ELi64ELi16EfPKPKfPKPfEviiT2_lT3_lllS8_lllS7_lT4_llli,@function
_ZL19rocblas_sbmv_kernelILb0ELi64ELi16EfPKPKfPKPfEviiT2_lT3_lllS8_lllS7_lT4_llli: ; @_ZL19rocblas_sbmv_kernelILb0ELi64ELi16EfPKPKfPKPfEviiT2_lT3_lllS8_lllS7_lT4_llli
; %bb.0:
	s_clause 0x1
	s_load_b64 s[4:5], s[0:1], 0x9c
	s_load_b32 s19, s[0:1], 0x88
	s_bfe_u32 s2, ttmp6, 0x40014
	s_lshr_b32 s6, ttmp7, 16
	s_add_co_i32 s2, s2, 1
	s_bfe_u32 s3, ttmp6, 0x40008
	s_mul_i32 s7, s6, s2
	s_getreg_b32 s2, hwreg(HW_REG_IB_STS2, 6, 4)
	s_add_co_i32 s7, s3, s7
	s_mov_b32 s21, 0
	s_wait_kmcnt 0x0
	s_lshr_b32 s8, s4, 16
	s_and_b32 s3, s4, 0xffff
	s_and_b32 s4, s5, 0xffff
	s_mul_i32 s5, s8, s3
	s_cmp_eq_u32 s2, 0
	s_mul_i32 s5, s5, s4
	s_cselect_b32 s20, s6, s7
	s_cmp_lg_u32 s5, 0x400
	s_cselect_b32 s4, -1, 0
	s_cmp_ge_u32 s20, s19
	s_cselect_b32 s5, -1, 0
	s_delay_alu instid0(SALU_CYCLE_1) | instskip(NEXT) | instid1(SALU_CYCLE_1)
	s_or_b32 s4, s4, s5
	s_and_b32 vcc_lo, exec_lo, s4
	s_cbranch_vccnz .LBB11_40
; %bb.1:
	s_clause 0x4
	s_load_b96 s[16:18], s[0:1], 0x0
	s_load_b32 s24, s[0:1], 0x58
	s_load_b128 s[4:7], s[0:1], 0x18
	s_load_b64 s[22:23], s[0:1], 0x28
	s_load_b64 s[28:29], s[0:1], 0x78
	v_and_b32_e32 v1, 0x3ff, v0
	v_bfe_u32 v0, v0, 10, 10
	s_mov_b64 s[34:35], 0xffffffffffffffc0
	s_delay_alu instid0(VALU_DEP_1) | instskip(SKIP_1) | instid1(VALU_DEP_2)
	v_mad_u32_u24 v7, v0, s3, v1
	v_mov_b32_e32 v11, 0
	v_cmp_gt_u32_e32 vcc_lo, 64, v7
	v_lshrrev_b32_e32 v6, 6, v7
	s_wait_kmcnt 0x0
	s_cmp_eq_f32 s18, 0
	s_cselect_b32 s25, -1, 0
	s_cmp_neq_f32 s24, 1.0
	s_cselect_b32 s8, -1, 0
	s_cmp_neq_f32 s18, 0
	s_cselect_b32 s9, -1, 0
	s_bfe_u32 s10, ttmp6, 0x4000c
	s_and_b32 s11, ttmp6, 15
	s_add_co_i32 s10, s10, 1
	s_or_b32 s26, s9, s8
	s_mul_i32 s10, ttmp9, s10
	v_cndmask_b32_e64 v13, 0, 1, s9
	s_add_co_i32 s11, s11, s10
	s_cmp_eq_u32 s2, 0
	s_cselect_b32 s2, ttmp9, s11
	s_clause 0x1
	s_load_b128 s[8:11], s[0:1], 0x38
	s_load_b128 s[12:15], s[0:1], 0x68
	s_lshl_b32 s2, s2, 6
	s_delay_alu instid0(SALU_CYCLE_1) | instskip(NEXT) | instid1(VALU_DEP_1)
	v_and_or_b32 v0, v7, 63, s2
	v_dual_add_nc_u32 v2, s2, v7 :: v_dual_ashrrev_i32 v1, 31, v0
	s_delay_alu instid0(VALU_DEP_1) | instskip(SKIP_2) | instid1(VALU_DEP_4)
	v_ashrrev_i32_e32 v3, 31, v2
	v_cmp_gt_i32_e64 s2, s16, v2
	v_dual_sub_nc_u32 v12, 0, v0 :: v_dual_sub_nc_u32 v28, v0, v6
	v_mul_u64_e32 v[4:5], s[22:23], v[0:1]
	s_delay_alu instid0(VALU_DEP_4)
	v_mul_u64_e32 v[2:3], s[28:29], v[2:3]
	s_and_b32 s27, vcc_lo, s2
	s_cmp_neq_f32 s24, 0
	v_lshlrev_b64_e32 v[8:9], 2, v[0:1]
	v_dual_lshlrev_b32 v1, 2, v7 :: v_dual_mov_b32 v7, v11
	s_cselect_b32 s28, -1, 0
	s_lshl_b64 s[2:3], s[22:23], 2
	s_lshl_b64 s[22:23], s[22:23], 6
	s_add_nc_u64 s[30:31], s[2:3], -4
	s_load_b64 s[2:3], s[0:1], 0x48
	v_mad_nc_u64_u32 v[8:9], v6, s30, v[8:9]
	s_wait_xcnt 0x0
	v_cmp_gt_i32_e64 s0, s16, v6
	v_cmp_gt_i32_e64 s1, s16, v0
	s_add_nc_u64 s[22:23], s[22:23], s[34:35]
	s_lshl_b64 s[6:7], s[6:7], 2
	s_wait_kmcnt 0x0
	s_lshl_b64 s[10:11], s[10:11], 2
	s_lshl_b64 s[14:15], s[14:15], 2
	v_mad_u32 v9, v6, s31, v9
	s_branch .LBB11_4
.LBB11_2:                               ;   in Loop: Header=BB11_4 Depth=1
	s_wait_xcnt 0x0
	s_or_b32 exec_lo, exec_lo, s30
.LBB11_3:                               ;   in Loop: Header=BB11_4 Depth=1
	s_add_co_i32 s20, s20, 0x10000
	s_delay_alu instid0(SALU_CYCLE_1)
	s_cmp_lt_u32 s20, s19
	s_cbranch_scc0 .LBB11_40
.LBB11_4:                               ; =>This Loop Header: Depth=1
                                        ;     Child Loop BB11_23 Depth 2
	s_and_not1_b32 vcc_lo, exec_lo, s26
	s_cbranch_vccnz .LBB11_3
; %bb.5:                                ;   in Loop: Header=BB11_4 Depth=1
	s_and_not1_b32 vcc_lo, exec_lo, s25
	s_cbranch_vccnz .LBB11_7
; %bb.6:                                ;   in Loop: Header=BB11_4 Depth=1
	v_mov_b64_e32 v[16:17], 0
	v_mov_b64_e32 v[20:21], 0
	s_cbranch_execz .LBB11_8
	s_branch .LBB11_9
.LBB11_7:                               ;   in Loop: Header=BB11_4 Depth=1
	v_mov_b64_e32 v[16:17], 0
	v_mov_b64_e32 v[20:21], 0
.LBB11_8:                               ;   in Loop: Header=BB11_4 Depth=1
	s_lshl_b64 s[30:31], s[20:21], 3
	s_delay_alu instid0(SALU_CYCLE_1)
	s_add_nc_u64 s[30:31], s[4:5], s[30:31]
	global_load_b64 v[14:15], v11, s[30:31]
	s_wait_loadcnt 0x0
	v_add_nc_u64_e32 v[20:21], s[6:7], v[14:15]
.LBB11_9:                               ;   in Loop: Header=BB11_4 Depth=1
	v_cmp_ne_u32_e32 vcc_lo, 1, v13
	s_cbranch_vccnz .LBB11_11
; %bb.10:                               ;   in Loop: Header=BB11_4 Depth=1
	s_wait_xcnt 0x0
	s_lshl_b64 s[30:31], s[20:21], 3
	s_delay_alu instid0(SALU_CYCLE_1)
	s_add_nc_u64 s[30:31], s[8:9], s[30:31]
	global_load_b64 v[14:15], v11, s[30:31]
	s_wait_loadcnt 0x0
	v_add_nc_u64_e32 v[16:17], s[10:11], v[14:15]
.LBB11_11:                              ;   in Loop: Header=BB11_4 Depth=1
	s_wait_xcnt 0x0
	s_lshl_b64 s[30:31], s[20:21], 3
	s_and_not1_b32 vcc_lo, exec_lo, s25
	s_add_nc_u64 s[30:31], s[12:13], s[30:31]
	global_load_b64 v[14:15], v11, s[30:31]
	s_wait_loadcnt 0x0
	v_add_nc_u64_e32 v[14:15], s[14:15], v[14:15]
	s_cbranch_vccnz .LBB11_15
; %bb.12:                               ;   in Loop: Header=BB11_4 Depth=1
	s_wait_xcnt 0x0
	s_mov_b32 s30, 0
	s_mov_b32 s29, 0
                                        ; implicit-def: $vgpr10
	s_and_saveexec_b32 s31, s27
	s_cbranch_execz .LBB11_16
; %bb.13:                               ;   in Loop: Header=BB11_4 Depth=1
	s_and_not1_b32 vcc_lo, exec_lo, s28
	s_cbranch_vccnz .LBB11_17
; %bb.14:                               ;   in Loop: Header=BB11_4 Depth=1
	v_lshl_add_u64 v[18:19], v[2:3], 2, v[14:15]
	flat_load_b32 v10, v[18:19]
	s_wait_loadcnt_dscnt 0x0
	v_mul_f32_e32 v10, s24, v10
	s_branch .LBB11_18
.LBB11_15:                              ;   in Loop: Header=BB11_4 Depth=1
	s_wait_xcnt 0x0
	s_mov_b32 s29, 0
                                        ; implicit-def: $vgpr10
	s_cbranch_execnz .LBB11_19
	s_branch .LBB11_38
.LBB11_16:                              ;   in Loop: Header=BB11_4 Depth=1
	s_or_b32 exec_lo, exec_lo, s31
	s_delay_alu instid0(SALU_CYCLE_1)
	s_and_b32 vcc_lo, exec_lo, s30
	s_cbranch_vccnz .LBB11_19
	s_branch .LBB11_38
.LBB11_17:                              ;   in Loop: Header=BB11_4 Depth=1
	v_mov_b32_e32 v10, 0
.LBB11_18:                              ;   in Loop: Header=BB11_4 Depth=1
	s_mov_b32 s29, exec_lo
	s_wait_xcnt 0x0
	s_or_b32 exec_lo, exec_lo, s31
	s_delay_alu instid0(SALU_CYCLE_1)
	s_and_b32 vcc_lo, exec_lo, s30
	s_cbranch_vccz .LBB11_38
.LBB11_19:                              ;   in Loop: Header=BB11_4 Depth=1
	v_mov_b32_e32 v29, 0
	s_and_saveexec_b32 s30, s0
	s_cbranch_execz .LBB11_33
; %bb.20:                               ;   in Loop: Header=BB11_4 Depth=1
	v_lshl_add_u64 v[18:19], v[4:5], 2, v[20:21]
	v_add_nc_u64_e32 v[20:21], v[20:21], v[8:9]
	v_mov_b64_e32 v[22:23], v[6:7]
	v_dual_mov_b32 v29, 0 :: v_dual_mov_b32 v30, v28
	v_mov_b32_e32 v10, v6
	s_mov_b32 s31, 0
	s_branch .LBB11_23
.LBB11_21:                              ;   in Loop: Header=BB11_23 Depth=2
	s_wait_xcnt 0x0
	s_or_b32 exec_lo, exec_lo, s35
.LBB11_22:                              ;   in Loop: Header=BB11_23 Depth=2
	s_delay_alu instid0(SALU_CYCLE_1) | instskip(SKIP_4) | instid1(VALU_DEP_4)
	s_or_b32 exec_lo, exec_lo, s33
	v_add_nc_u64_e32 v[22:23], 16, v[22:23]
	v_add_nc_u64_e32 v[20:21], s[22:23], v[20:21]
	v_add_nc_u32_e32 v10, 16, v10
	v_add_nc_u32_e32 v30, -16, v30
	v_cmp_le_i32_e32 vcc_lo, s16, v22
	s_or_b32 s31, vcc_lo, s31
	s_delay_alu instid0(SALU_CYCLE_1)
	s_and_not1_b32 exec_lo, exec_lo, s31
	s_cbranch_execz .LBB11_32
.LBB11_23:                              ;   Parent Loop BB11_4 Depth=1
                                        ; =>  This Inner Loop Header: Depth=2
	s_and_saveexec_b32 s33, s1
	s_cbranch_execz .LBB11_22
; %bb.24:                               ;   in Loop: Header=BB11_23 Depth=2
	s_mov_b32 s34, 0
	s_mov_b32 s35, exec_lo
	v_cmpx_ge_i32_e64 v0, v22
	s_xor_b32 s35, exec_lo, s35
; %bb.25:                               ;   in Loop: Header=BB11_23 Depth=2
	v_cmp_ge_i32_e32 vcc_lo, s17, v30
	s_and_b32 s34, vcc_lo, exec_lo
; %bb.26:                               ;   in Loop: Header=BB11_23 Depth=2
	s_or_saveexec_b32 s35, s35
	v_mov_b64_e32 v[24:25], v[20:21]
	v_mov_b64_e32 v[26:27], v[22:23]
	s_xor_b32 exec_lo, exec_lo, s35
	s_cbranch_execz .LBB11_30
; %bb.27:                               ;   in Loop: Header=BB11_23 Depth=2
	v_add_nc_u32_e32 v24, v12, v22
	s_mov_b32 s37, s34
                                        ; implicit-def: $vgpr26_vgpr27
	s_delay_alu instid0(VALU_DEP_1)
	v_cmp_ge_i32_e32 vcc_lo, s17, v24
                                        ; implicit-def: $vgpr24_vgpr25
	s_and_saveexec_b32 s36, vcc_lo
; %bb.28:                               ;   in Loop: Header=BB11_23 Depth=2
	v_sub_nc_u32_e32 v24, v10, v0
	v_mov_b64_e32 v[26:27], v[10:11]
	s_or_b32 s37, s34, exec_lo
	s_delay_alu instid0(VALU_DEP_2) | instskip(NEXT) | instid1(VALU_DEP_1)
	v_ashrrev_i32_e32 v25, 31, v24
	v_lshl_add_u64 v[24:25], v[24:25], 2, v[18:19]
; %bb.29:                               ;   in Loop: Header=BB11_23 Depth=2
	s_or_b32 exec_lo, exec_lo, s36
	s_delay_alu instid0(SALU_CYCLE_1) | instskip(SKIP_1) | instid1(SALU_CYCLE_1)
	s_and_not1_b32 s34, s34, exec_lo
	s_and_b32 s36, s37, exec_lo
	s_or_b32 s34, s34, s36
.LBB11_30:                              ;   in Loop: Header=BB11_23 Depth=2
	s_or_b32 exec_lo, exec_lo, s35
	s_and_saveexec_b32 s35, s34
	s_cbranch_execz .LBB11_21
; %bb.31:                               ;   in Loop: Header=BB11_23 Depth=2
	s_delay_alu instid0(VALU_DEP_1) | instskip(NEXT) | instid1(VALU_DEP_1)
	v_mul_u64_e32 v[26:27], s[2:3], v[26:27]
	v_lshl_add_u64 v[26:27], v[26:27], 2, v[16:17]
	flat_load_b32 v31, v[24:25]
	flat_load_b32 v32, v[26:27]
	s_wait_loadcnt_dscnt 0x0
	v_fmac_f32_e32 v29, v31, v32
	s_branch .LBB11_21
.LBB11_32:                              ;   in Loop: Header=BB11_4 Depth=1
	s_or_b32 exec_lo, exec_lo, s31
.LBB11_33:                              ;   in Loop: Header=BB11_4 Depth=1
	s_delay_alu instid0(SALU_CYCLE_1)
	s_or_b32 exec_lo, exec_lo, s30
	ds_store_b32 v1, v29
	s_wait_dscnt 0x0
	s_barrier_signal -1
	s_barrier_wait -1
                                        ; implicit-def: $vgpr10
	s_and_saveexec_b32 s30, s27
	s_cbranch_execz .LBB11_37
; %bb.34:                               ;   in Loop: Header=BB11_4 Depth=1
	ds_load_2addr_stride64_b32 v[16:17], v1 offset1:1
	ds_load_2addr_stride64_b32 v[18:19], v1 offset0:2 offset1:3
	ds_load_2addr_stride64_b32 v[20:21], v1 offset0:4 offset1:5
	;; [unrolled: 1-line block ×3, first 2 shown]
	s_and_not1_b32 vcc_lo, exec_lo, s28
	s_wait_dscnt 0x3
	v_add_f32_e32 v10, v16, v17
	ds_load_2addr_stride64_b32 v[16:17], v1 offset0:8 offset1:9
	s_wait_dscnt 0x3
	v_add_f32_e32 v10, v18, v10
	s_delay_alu instid0(VALU_DEP_1) | instskip(SKIP_3) | instid1(VALU_DEP_1)
	v_add_f32_e32 v10, v19, v10
	ds_load_2addr_stride64_b32 v[18:19], v1 offset0:10 offset1:11
	s_wait_dscnt 0x3
	v_add_f32_e32 v10, v20, v10
	v_add_f32_e32 v10, v21, v10
	s_wait_dscnt 0x2
	s_delay_alu instid0(VALU_DEP_1) | instskip(NEXT) | instid1(VALU_DEP_1)
	v_add_f32_e32 v10, v22, v10
	v_add_f32_e32 v10, v23, v10
	ds_load_2addr_stride64_b32 v[20:21], v1 offset0:12 offset1:13
	ds_load_2addr_stride64_b32 v[22:23], v1 offset0:14 offset1:15
	s_wait_dscnt 0x3
	v_add_f32_e32 v10, v16, v10
	s_delay_alu instid0(VALU_DEP_1) | instskip(SKIP_1) | instid1(VALU_DEP_1)
	v_add_f32_e32 v10, v17, v10
	s_wait_dscnt 0x2
	v_add_f32_e32 v10, v18, v10
	s_delay_alu instid0(VALU_DEP_1) | instskip(SKIP_1) | instid1(VALU_DEP_1)
	v_add_f32_e32 v10, v19, v10
	;; [unrolled: 4-line block ×3, first 2 shown]
	s_wait_dscnt 0x0
	v_add_f32_e32 v10, v22, v10
	s_delay_alu instid0(VALU_DEP_1) | instskip(NEXT) | instid1(VALU_DEP_1)
	v_add_f32_e32 v16, v23, v10
	v_mul_f32_e32 v10, s18, v16
	ds_store_b32 v1, v16
	s_cbranch_vccnz .LBB11_36
; %bb.35:                               ;   in Loop: Header=BB11_4 Depth=1
	v_lshl_add_u64 v[16:17], v[2:3], 2, v[14:15]
	flat_load_b32 v16, v[16:17]
	s_wait_loadcnt_dscnt 0x0
	v_fmac_f32_e32 v10, s24, v16
.LBB11_36:                              ;   in Loop: Header=BB11_4 Depth=1
	s_or_b32 s29, s29, exec_lo
.LBB11_37:                              ;   in Loop: Header=BB11_4 Depth=1
	s_wait_xcnt 0x0
	s_or_b32 exec_lo, exec_lo, s30
.LBB11_38:                              ;   in Loop: Header=BB11_4 Depth=1
	s_and_saveexec_b32 s30, s29
	s_cbranch_execz .LBB11_2
; %bb.39:                               ;   in Loop: Header=BB11_4 Depth=1
	v_lshl_add_u64 v[14:15], v[2:3], 2, v[14:15]
	flat_store_b32 v[14:15], v10
	s_branch .LBB11_2
.LBB11_40:
	s_endpgm
	.section	.rodata,"a",@progbits
	.p2align	6, 0x0
	.amdhsa_kernel _ZL19rocblas_sbmv_kernelILb0ELi64ELi16EfPKPKfPKPfEviiT2_lT3_lllS8_lllS7_lT4_llli
		.amdhsa_group_segment_fixed_size 4096
		.amdhsa_private_segment_fixed_size 0
		.amdhsa_kernarg_size 400
		.amdhsa_user_sgpr_count 2
		.amdhsa_user_sgpr_dispatch_ptr 0
		.amdhsa_user_sgpr_queue_ptr 0
		.amdhsa_user_sgpr_kernarg_segment_ptr 1
		.amdhsa_user_sgpr_dispatch_id 0
		.amdhsa_user_sgpr_kernarg_preload_length 0
		.amdhsa_user_sgpr_kernarg_preload_offset 0
		.amdhsa_user_sgpr_private_segment_size 0
		.amdhsa_wavefront_size32 1
		.amdhsa_uses_dynamic_stack 0
		.amdhsa_enable_private_segment 0
		.amdhsa_system_sgpr_workgroup_id_x 1
		.amdhsa_system_sgpr_workgroup_id_y 0
		.amdhsa_system_sgpr_workgroup_id_z 1
		.amdhsa_system_sgpr_workgroup_info 0
		.amdhsa_system_vgpr_workitem_id 1
		.amdhsa_next_free_vgpr 33
		.amdhsa_next_free_sgpr 38
		.amdhsa_named_barrier_count 0
		.amdhsa_reserve_vcc 1
		.amdhsa_float_round_mode_32 0
		.amdhsa_float_round_mode_16_64 0
		.amdhsa_float_denorm_mode_32 3
		.amdhsa_float_denorm_mode_16_64 3
		.amdhsa_fp16_overflow 0
		.amdhsa_memory_ordered 1
		.amdhsa_forward_progress 1
		.amdhsa_inst_pref_size 11
		.amdhsa_round_robin_scheduling 0
		.amdhsa_exception_fp_ieee_invalid_op 0
		.amdhsa_exception_fp_denorm_src 0
		.amdhsa_exception_fp_ieee_div_zero 0
		.amdhsa_exception_fp_ieee_overflow 0
		.amdhsa_exception_fp_ieee_underflow 0
		.amdhsa_exception_fp_ieee_inexact 0
		.amdhsa_exception_int_div_zero 0
	.end_amdhsa_kernel
	.section	.text._ZL19rocblas_sbmv_kernelILb0ELi64ELi16EfPKPKfPKPfEviiT2_lT3_lllS8_lllS7_lT4_llli,"axG",@progbits,_ZL19rocblas_sbmv_kernelILb0ELi64ELi16EfPKPKfPKPfEviiT2_lT3_lllS8_lllS7_lT4_llli,comdat
.Lfunc_end11:
	.size	_ZL19rocblas_sbmv_kernelILb0ELi64ELi16EfPKPKfPKPfEviiT2_lT3_lllS8_lllS7_lT4_llli, .Lfunc_end11-_ZL19rocblas_sbmv_kernelILb0ELi64ELi16EfPKPKfPKPfEviiT2_lT3_lllS8_lllS7_lT4_llli
                                        ; -- End function
	.set _ZL19rocblas_sbmv_kernelILb0ELi64ELi16EfPKPKfPKPfEviiT2_lT3_lllS8_lllS7_lT4_llli.num_vgpr, 33
	.set _ZL19rocblas_sbmv_kernelILb0ELi64ELi16EfPKPKfPKPfEviiT2_lT3_lllS8_lllS7_lT4_llli.num_agpr, 0
	.set _ZL19rocblas_sbmv_kernelILb0ELi64ELi16EfPKPKfPKPfEviiT2_lT3_lllS8_lllS7_lT4_llli.numbered_sgpr, 38
	.set _ZL19rocblas_sbmv_kernelILb0ELi64ELi16EfPKPKfPKPfEviiT2_lT3_lllS8_lllS7_lT4_llli.num_named_barrier, 0
	.set _ZL19rocblas_sbmv_kernelILb0ELi64ELi16EfPKPKfPKPfEviiT2_lT3_lllS8_lllS7_lT4_llli.private_seg_size, 0
	.set _ZL19rocblas_sbmv_kernelILb0ELi64ELi16EfPKPKfPKPfEviiT2_lT3_lllS8_lllS7_lT4_llli.uses_vcc, 1
	.set _ZL19rocblas_sbmv_kernelILb0ELi64ELi16EfPKPKfPKPfEviiT2_lT3_lllS8_lllS7_lT4_llli.uses_flat_scratch, 0
	.set _ZL19rocblas_sbmv_kernelILb0ELi64ELi16EfPKPKfPKPfEviiT2_lT3_lllS8_lllS7_lT4_llli.has_dyn_sized_stack, 0
	.set _ZL19rocblas_sbmv_kernelILb0ELi64ELi16EfPKPKfPKPfEviiT2_lT3_lllS8_lllS7_lT4_llli.has_recursion, 0
	.set _ZL19rocblas_sbmv_kernelILb0ELi64ELi16EfPKPKfPKPfEviiT2_lT3_lllS8_lllS7_lT4_llli.has_indirect_call, 0
	.section	.AMDGPU.csdata,"",@progbits
; Kernel info:
; codeLenInByte = 1408
; TotalNumSgprs: 40
; NumVgprs: 33
; ScratchSize: 0
; MemoryBound: 0
; FloatMode: 240
; IeeeMode: 1
; LDSByteSize: 4096 bytes/workgroup (compile time only)
; SGPRBlocks: 0
; VGPRBlocks: 2
; NumSGPRsForWavesPerEU: 40
; NumVGPRsForWavesPerEU: 33
; NamedBarCnt: 0
; Occupancy: 16
; WaveLimiterHint : 1
; COMPUTE_PGM_RSRC2:SCRATCH_EN: 0
; COMPUTE_PGM_RSRC2:USER_SGPR: 2
; COMPUTE_PGM_RSRC2:TRAP_HANDLER: 0
; COMPUTE_PGM_RSRC2:TGID_X_EN: 1
; COMPUTE_PGM_RSRC2:TGID_Y_EN: 0
; COMPUTE_PGM_RSRC2:TGID_Z_EN: 1
; COMPUTE_PGM_RSRC2:TIDIG_COMP_CNT: 1
	.section	.text._ZL19rocblas_sbmv_kernelILb1ELi64ELi16EPKdPKS1_PKPdEviiT2_lT3_lllS8_lllS7_lT4_llli,"axG",@progbits,_ZL19rocblas_sbmv_kernelILb1ELi64ELi16EPKdPKS1_PKPdEviiT2_lT3_lllS8_lllS7_lT4_llli,comdat
	.globl	_ZL19rocblas_sbmv_kernelILb1ELi64ELi16EPKdPKS1_PKPdEviiT2_lT3_lllS8_lllS7_lT4_llli ; -- Begin function _ZL19rocblas_sbmv_kernelILb1ELi64ELi16EPKdPKS1_PKPdEviiT2_lT3_lllS8_lllS7_lT4_llli
	.p2align	8
	.type	_ZL19rocblas_sbmv_kernelILb1ELi64ELi16EPKdPKS1_PKPdEviiT2_lT3_lllS8_lllS7_lT4_llli,@function
_ZL19rocblas_sbmv_kernelILb1ELi64ELi16EPKdPKS1_PKPdEviiT2_lT3_lllS8_lllS7_lT4_llli: ; @_ZL19rocblas_sbmv_kernelILb1ELi64ELi16EPKdPKS1_PKPdEviiT2_lT3_lllS8_lllS7_lT4_llli
; %bb.0:
	s_clause 0x1
	s_load_b64 s[4:5], s[0:1], 0x9c
	s_load_b32 s33, s[0:1], 0x88
	s_bfe_u32 s2, ttmp6, 0x40014
	s_lshr_b32 s6, ttmp7, 16
	s_add_co_i32 s2, s2, 1
	s_bfe_u32 s3, ttmp6, 0x40008
	s_mul_i32 s7, s6, s2
	s_getreg_b32 s2, hwreg(HW_REG_IB_STS2, 6, 4)
	s_add_co_i32 s7, s3, s7
	s_mov_b32 s25, 0
	s_wait_kmcnt 0x0
	s_lshr_b32 s8, s4, 16
	s_and_b32 s3, s4, 0xffff
	s_and_b32 s4, s5, 0xffff
	s_mul_i32 s5, s8, s3
	s_cmp_eq_u32 s2, 0
	s_mul_i32 s5, s5, s4
	s_cselect_b32 s24, s6, s7
	s_cmp_lg_u32 s5, 0x400
	s_cselect_b32 s4, -1, 0
	s_cmp_ge_u32 s24, s33
	s_cselect_b32 s5, -1, 0
	s_delay_alu instid0(SALU_CYCLE_1) | instskip(NEXT) | instid1(SALU_CYCLE_1)
	s_or_b32 s4, s4, s5
	s_and_b32 vcc_lo, exec_lo, s4
	s_cbranch_vccnz .LBB12_37
; %bb.1:
	s_clause 0x1
	s_load_b64 s[30:31], s[0:1], 0x28
	s_load_b64 s[26:27], s[0:1], 0x0
	v_and_b32_e32 v1, 0x3ff, v0
	v_bfe_u32 v0, v0, 10, 10
	s_bfe_u32 s6, ttmp6, 0x4000c
	s_clause 0x1
	s_load_b64 s[4:5], s[0:1], 0x78
	s_load_b128 s[20:23], s[0:1], 0x38
	s_add_co_i32 s6, s6, 1
	v_mad_u32_u24 v0, v0, s3, v1
	s_and_b32 s7, ttmp6, 15
	s_mul_i32 s6, ttmp9, s6
	v_mov_b32_e32 v1, 0
	s_add_co_i32 s7, s7, s6
	s_cmp_eq_u32 s2, 0
	v_and_b32_e32 v14, 63, v0
	s_cselect_b32 s2, ttmp9, s7
	v_dual_mov_b32 v3, v1 :: v_dual_lshrrev_b32 v2, 6, v0
	s_lshl_b32 s3, s2, 6
	v_cmp_gt_u32_e32 vcc_lo, 64, v0
	v_dual_add_nc_u32 v10, s3, v0 :: v_dual_bitop2_b32 v4, s3, v14 bitop3:0x54
	s_wait_kmcnt 0x0
	v_mul_u64_e32 v[12:13], s[30:31], v[2:3]
	s_delay_alu instid0(VALU_DEP_2)
	v_dual_ashrrev_i32 v11, 31, v10 :: v_dual_ashrrev_i32 v5, 31, v4
	v_cmp_gt_i32_e64 s2, s26, v10
	s_lshl_b64 s[22:23], s[22:23], 3
	v_mul_u64_e32 v[6:7], s[4:5], v[10:11]
	v_mul_u64_e32 v[8:9], s[30:31], v[4:5]
	s_clause 0x2
	s_load_b256 s[4:11], s[0:1], 0x8
	s_load_b256 s[12:19], s[0:1], 0x58
	s_load_b64 s[28:29], s[0:1], 0x48
	v_lshlrev_b32_e32 v5, 3, v0
	v_add3_u32 v0, s27, s3, v14
	v_sub_nc_u32_e32 v14, s27, v14
	s_wait_xcnt 0x0
	v_cmp_gt_i32_e64 s0, s26, v2
	v_cmp_gt_i32_e64 s1, s26, v4
	s_and_b32 s27, vcc_lo, s2
	s_lshl_b64 s[30:31], s[30:31], 7
	s_wait_kmcnt 0x0
	s_lshl_b64 s[10:11], s[10:11], 3
	s_lshl_b64 s[18:19], s[18:19], 3
	v_lshlrev_b64_e32 v[10:11], 3, v[12:13]
	v_sub_nc_u32_e32 v13, v0, v2
	v_subrev_nc_u32_e32 v12, s3, v14
	s_branch .LBB12_4
.LBB12_2:                               ;   in Loop: Header=BB12_4 Depth=1
	s_wait_xcnt 0x0
	s_or_b32 exec_lo, exec_lo, s3
.LBB12_3:                               ;   in Loop: Header=BB12_4 Depth=1
	s_add_co_i32 s24, s24, 0x10000
	s_delay_alu instid0(SALU_CYCLE_1)
	s_cmp_lt_u32 s24, s33
	s_cbranch_scc0 .LBB12_37
.LBB12_4:                               ; =>This Loop Header: Depth=1
                                        ;     Child Loop BB12_20 Depth 2
	s_mul_u64 s[2:3], s[6:7], s[24:25]
	s_wait_xcnt 0x0
	s_mul_u64 s[34:35], s[14:15], s[24:25]
	s_lshl_b64 s[2:3], s[2:3], 3
	s_lshl_b64 s[34:35], s[34:35], 3
	s_add_nc_u64 s[2:3], s[4:5], s[2:3]
	s_add_nc_u64 s[34:35], s[12:13], s[34:35]
	s_clause 0x1
	global_load_b64 v[16:17], v1, s[2:3]
	global_load_b64 v[14:15], v1, s[34:35]
	s_wait_loadcnt 0x1
	s_wait_xcnt 0x1
	v_cmp_eq_f64_e64 s2, 0, v[16:17]
	s_wait_loadcnt 0x0
	v_cmp_eq_f64_e32 vcc_lo, 1.0, v[14:15]
	s_and_b32 s3, s2, vcc_lo
	s_delay_alu instid0(SALU_CYCLE_1)
	s_and_b32 vcc_lo, exec_lo, s3
	s_cbranch_vccnz .LBB12_3
; %bb.5:                                ;   in Loop: Header=BB12_4 Depth=1
	v_cmp_neq_f64_e64 s3, 0, v[16:17]
	v_mov_b64_e32 v[20:21], 0
	v_mov_b64_e32 v[26:27], 0
	s_and_b32 vcc_lo, exec_lo, s2
	s_cbranch_vccnz .LBB12_7
; %bb.6:                                ;   in Loop: Header=BB12_4 Depth=1
	s_wait_xcnt 0x0
	s_lshl_b64 s[34:35], s[24:25], 3
	s_delay_alu instid0(SALU_CYCLE_1)
	s_add_nc_u64 s[34:35], s[8:9], s[34:35]
	global_load_b64 v[18:19], v1, s[34:35]
	s_wait_loadcnt 0x0
	v_add_nc_u64_e32 v[26:27], s[10:11], v[18:19]
.LBB12_7:                               ;   in Loop: Header=BB12_4 Depth=1
	s_and_not1_b32 vcc_lo, exec_lo, s3
	s_cbranch_vccnz .LBB12_9
; %bb.8:                                ;   in Loop: Header=BB12_4 Depth=1
	s_wait_xcnt 0x0
	s_lshl_b64 s[34:35], s[24:25], 3
	s_delay_alu instid0(SALU_CYCLE_1)
	s_add_nc_u64 s[34:35], s[20:21], s[34:35]
	global_load_b64 v[18:19], v1, s[34:35]
	s_wait_loadcnt 0x0
	v_add_nc_u64_e32 v[20:21], s[22:23], v[18:19]
.LBB12_9:                               ;   in Loop: Header=BB12_4 Depth=1
	s_wait_xcnt 0x0
	s_lshl_b64 s[34:35], s[24:25], 3
	s_and_not1_b32 vcc_lo, exec_lo, s2
	s_add_nc_u64 s[34:35], s[16:17], s[34:35]
	global_load_b64 v[18:19], v1, s[34:35]
	s_wait_loadcnt 0x0
	v_add_nc_u64_e32 v[18:19], s[18:19], v[18:19]
	s_cbranch_vccnz .LBB12_14
; %bb.10:                               ;   in Loop: Header=BB12_4 Depth=1
	s_mov_b32 s3, 0
	s_mov_b32 s2, 0
                                        ; implicit-def: $vgpr22_vgpr23
	s_wait_xcnt 0x0
	s_and_saveexec_b32 s34, s27
	s_cbranch_execz .LBB12_15
; %bb.11:                               ;   in Loop: Header=BB12_4 Depth=1
	v_cmp_eq_f64_e32 vcc_lo, 0, v[14:15]
	v_mov_b64_e32 v[22:23], 0
	s_cbranch_vccnz .LBB12_13
; %bb.12:                               ;   in Loop: Header=BB12_4 Depth=1
	v_lshl_add_u64 v[22:23], v[6:7], 3, v[18:19]
	flat_load_b64 v[22:23], v[22:23]
	s_wait_loadcnt_dscnt 0x0
	s_wait_xcnt 0x0
	v_mul_f64_e32 v[22:23], v[14:15], v[22:23]
.LBB12_13:                              ;   in Loop: Header=BB12_4 Depth=1
	s_mov_b32 s2, exec_lo
	s_or_b32 exec_lo, exec_lo, s34
	s_delay_alu instid0(SALU_CYCLE_1)
	s_and_b32 vcc_lo, exec_lo, s3
	s_cbranch_vccnz .LBB12_16
	s_branch .LBB12_35
.LBB12_14:                              ;   in Loop: Header=BB12_4 Depth=1
	s_mov_b32 s2, 0
                                        ; implicit-def: $vgpr22_vgpr23
	s_cbranch_execnz .LBB12_16
	s_branch .LBB12_35
.LBB12_15:                              ;   in Loop: Header=BB12_4 Depth=1
	s_or_b32 exec_lo, exec_lo, s34
	s_delay_alu instid0(SALU_CYCLE_1)
	s_and_b32 vcc_lo, exec_lo, s3
	s_cbranch_vccz .LBB12_35
.LBB12_16:                              ;   in Loop: Header=BB12_4 Depth=1
	v_mov_b64_e32 v[22:23], 0
	s_wait_xcnt 0x0
	s_and_saveexec_b32 s3, s0
	s_cbranch_execz .LBB12_30
; %bb.17:                               ;   in Loop: Header=BB12_4 Depth=1
	v_lshl_add_u64 v[24:25], v[8:9], 3, v[26:27]
	v_add_nc_u64_e32 v[26:27], v[26:27], v[10:11]
	v_mov_b64_e32 v[22:23], 0
	v_mov_b64_e32 v[28:29], v[2:3]
	v_dual_mov_b32 v0, v13 :: v_dual_mov_b32 v30, v2
	s_mov_b32 s34, 0
	s_branch .LBB12_20
.LBB12_18:                              ;   in Loop: Header=BB12_20 Depth=2
	s_wait_xcnt 0x0
	s_or_b32 exec_lo, exec_lo, s37
.LBB12_19:                              ;   in Loop: Header=BB12_20 Depth=2
	s_delay_alu instid0(SALU_CYCLE_1) | instskip(SKIP_3) | instid1(VALU_DEP_3)
	s_or_b32 exec_lo, exec_lo, s35
	v_add_nc_u64_e32 v[28:29], 16, v[28:29]
	v_add_nc_u64_e32 v[26:27], s[30:31], v[26:27]
	v_dual_add_nc_u32 v30, 16, v30 :: v_dual_add_nc_u32 v0, -16, v0
	v_cmp_le_i32_e32 vcc_lo, s26, v28
	s_or_b32 s34, vcc_lo, s34
	s_delay_alu instid0(SALU_CYCLE_1)
	s_and_not1_b32 exec_lo, exec_lo, s34
	s_cbranch_execz .LBB12_29
.LBB12_20:                              ;   Parent Loop BB12_4 Depth=1
                                        ; =>  This Inner Loop Header: Depth=2
	s_and_saveexec_b32 s35, s1
	s_cbranch_execz .LBB12_19
; %bb.21:                               ;   in Loop: Header=BB12_20 Depth=2
	s_mov_b32 s36, 0
	s_mov_b32 s37, exec_lo
                                        ; implicit-def: $vgpr32_vgpr33
	v_cmpx_le_i32_e64 v4, v28
	s_xor_b32 s37, exec_lo, s37
	s_cbranch_execnz .LBB12_24
; %bb.22:                               ;   in Loop: Header=BB12_20 Depth=2
	s_or_saveexec_b32 s37, s37
	v_mov_b64_e32 v[34:35], v[28:29]
	s_xor_b32 exec_lo, exec_lo, s37
	s_cbranch_execnz .LBB12_25
.LBB12_23:                              ;   in Loop: Header=BB12_20 Depth=2
	s_or_b32 exec_lo, exec_lo, s37
	s_and_saveexec_b32 s37, s36
	s_cbranch_execz .LBB12_18
	s_branch .LBB12_28
.LBB12_24:                              ;   in Loop: Header=BB12_20 Depth=2
	v_cmp_lt_i32_e32 vcc_lo, -1, v0
	v_lshl_add_u64 v[32:33], v[0:1], 3, v[26:27]
	s_and_b32 s36, vcc_lo, exec_lo
	s_or_saveexec_b32 s37, s37
	v_mov_b64_e32 v[34:35], v[28:29]
	s_xor_b32 exec_lo, exec_lo, s37
	s_cbranch_execz .LBB12_23
.LBB12_25:                              ;   in Loop: Header=BB12_20 Depth=2
	v_add_nc_u32_e32 v36, v12, v28
	s_mov_b32 s39, s36
	s_mov_b32 s38, exec_lo
                                        ; implicit-def: $vgpr32_vgpr33
                                        ; implicit-def: $vgpr34_vgpr35
	s_delay_alu instid0(VALU_DEP_1)
	v_cmpx_lt_i32_e32 -1, v36
; %bb.26:                               ;   in Loop: Header=BB12_20 Depth=2
	v_dual_mov_b32 v37, v1 :: v_dual_mov_b32 v31, v1
	s_or_b32 s39, s36, exec_lo
	s_delay_alu instid0(VALU_DEP_1) | instskip(NEXT) | instid1(VALU_DEP_2)
	v_lshl_add_u64 v[32:33], v[36:37], 3, v[24:25]
	v_mov_b64_e32 v[34:35], v[30:31]
; %bb.27:                               ;   in Loop: Header=BB12_20 Depth=2
	s_or_b32 exec_lo, exec_lo, s38
	s_delay_alu instid0(SALU_CYCLE_1) | instskip(SKIP_1) | instid1(SALU_CYCLE_1)
	s_and_not1_b32 s36, s36, exec_lo
	s_and_b32 s38, s39, exec_lo
	s_or_b32 s36, s36, s38
	s_or_b32 exec_lo, exec_lo, s37
	s_and_saveexec_b32 s37, s36
	s_cbranch_execz .LBB12_18
.LBB12_28:                              ;   in Loop: Header=BB12_20 Depth=2
	v_mul_u64_e32 v[34:35], s[28:29], v[34:35]
	s_delay_alu instid0(VALU_DEP_1)
	v_lshl_add_u64 v[34:35], v[34:35], 3, v[20:21]
	flat_load_b64 v[36:37], v[32:33]
	flat_load_b64 v[38:39], v[34:35]
	s_wait_loadcnt_dscnt 0x0
	v_fmac_f64_e32 v[22:23], v[36:37], v[38:39]
	s_branch .LBB12_18
.LBB12_29:                              ;   in Loop: Header=BB12_4 Depth=1
	s_or_b32 exec_lo, exec_lo, s34
.LBB12_30:                              ;   in Loop: Header=BB12_4 Depth=1
	s_delay_alu instid0(SALU_CYCLE_1)
	s_or_b32 exec_lo, exec_lo, s3
	ds_store_b64 v5, v[22:23]
	s_wait_dscnt 0x0
	s_barrier_signal -1
	s_barrier_wait -1
                                        ; implicit-def: $vgpr22_vgpr23
	s_and_saveexec_b32 s3, s27
	s_cbranch_execz .LBB12_34
; %bb.31:                               ;   in Loop: Header=BB12_4 Depth=1
	ds_load_2addr_stride64_b64 v[20:23], v5 offset1:1
	ds_load_2addr_stride64_b64 v[24:27], v5 offset0:2 offset1:3
	v_cmp_eq_f64_e32 vcc_lo, 0, v[14:15]
	s_wait_dscnt 0x1
	v_add_f64_e32 v[20:21], v[20:21], v[22:23]
	s_and_b32 vcc_lo, exec_lo, vcc_lo
	s_wait_dscnt 0x0
	s_delay_alu instid0(VALU_DEP_1) | instskip(NEXT) | instid1(VALU_DEP_1)
	v_add_f64_e32 v[20:21], v[24:25], v[20:21]
	v_add_f64_e32 v[28:29], v[26:27], v[20:21]
	ds_load_2addr_stride64_b64 v[20:23], v5 offset0:4 offset1:5
	ds_load_2addr_stride64_b64 v[24:27], v5 offset0:6 offset1:7
	s_wait_dscnt 0x1
	v_add_f64_e32 v[20:21], v[20:21], v[28:29]
	s_delay_alu instid0(VALU_DEP_1) | instskip(SKIP_1) | instid1(VALU_DEP_1)
	v_add_f64_e32 v[20:21], v[22:23], v[20:21]
	s_wait_dscnt 0x0
	v_add_f64_e32 v[20:21], v[24:25], v[20:21]
	s_delay_alu instid0(VALU_DEP_1) | instskip(SKIP_4) | instid1(VALU_DEP_1)
	v_add_f64_e32 v[28:29], v[26:27], v[20:21]
	ds_load_2addr_stride64_b64 v[20:23], v5 offset0:8 offset1:9
	ds_load_2addr_stride64_b64 v[24:27], v5 offset0:10 offset1:11
	s_wait_dscnt 0x1
	v_add_f64_e32 v[20:21], v[20:21], v[28:29]
	v_add_f64_e32 v[20:21], v[22:23], v[20:21]
	s_wait_dscnt 0x0
	s_delay_alu instid0(VALU_DEP_1) | instskip(NEXT) | instid1(VALU_DEP_1)
	v_add_f64_e32 v[20:21], v[24:25], v[20:21]
	v_add_f64_e32 v[28:29], v[26:27], v[20:21]
	ds_load_2addr_stride64_b64 v[20:23], v5 offset0:12 offset1:13
	ds_load_2addr_stride64_b64 v[24:27], v5 offset0:14 offset1:15
	s_wait_dscnt 0x1
	v_add_f64_e32 v[20:21], v[20:21], v[28:29]
	s_delay_alu instid0(VALU_DEP_1) | instskip(SKIP_1) | instid1(VALU_DEP_1)
	v_add_f64_e32 v[20:21], v[22:23], v[20:21]
	s_wait_dscnt 0x0
	v_add_f64_e32 v[20:21], v[24:25], v[20:21]
	s_delay_alu instid0(VALU_DEP_1) | instskip(NEXT) | instid1(VALU_DEP_1)
	v_add_f64_e32 v[20:21], v[26:27], v[20:21]
	v_mul_f64_e32 v[22:23], v[16:17], v[20:21]
	ds_store_b64 v5, v[20:21]
	s_cbranch_vccnz .LBB12_33
; %bb.32:                               ;   in Loop: Header=BB12_4 Depth=1
	v_lshl_add_u64 v[16:17], v[6:7], 3, v[18:19]
	flat_load_b64 v[16:17], v[16:17]
	s_wait_loadcnt_dscnt 0x0
	v_fmac_f64_e32 v[22:23], v[14:15], v[16:17]
.LBB12_33:                              ;   in Loop: Header=BB12_4 Depth=1
	s_or_b32 s2, s2, exec_lo
.LBB12_34:                              ;   in Loop: Header=BB12_4 Depth=1
	s_wait_xcnt 0x0
	s_or_b32 exec_lo, exec_lo, s3
.LBB12_35:                              ;   in Loop: Header=BB12_4 Depth=1
	s_wait_xcnt 0x0
	s_and_saveexec_b32 s3, s2
	s_cbranch_execz .LBB12_2
; %bb.36:                               ;   in Loop: Header=BB12_4 Depth=1
	v_lshl_add_u64 v[14:15], v[6:7], 3, v[18:19]
	flat_store_b64 v[14:15], v[22:23]
	s_branch .LBB12_2
.LBB12_37:
	s_endpgm
	.section	.rodata,"a",@progbits
	.p2align	6, 0x0
	.amdhsa_kernel _ZL19rocblas_sbmv_kernelILb1ELi64ELi16EPKdPKS1_PKPdEviiT2_lT3_lllS8_lllS7_lT4_llli
		.amdhsa_group_segment_fixed_size 8192
		.amdhsa_private_segment_fixed_size 0
		.amdhsa_kernarg_size 400
		.amdhsa_user_sgpr_count 2
		.amdhsa_user_sgpr_dispatch_ptr 0
		.amdhsa_user_sgpr_queue_ptr 0
		.amdhsa_user_sgpr_kernarg_segment_ptr 1
		.amdhsa_user_sgpr_dispatch_id 0
		.amdhsa_user_sgpr_kernarg_preload_length 0
		.amdhsa_user_sgpr_kernarg_preload_offset 0
		.amdhsa_user_sgpr_private_segment_size 0
		.amdhsa_wavefront_size32 1
		.amdhsa_uses_dynamic_stack 0
		.amdhsa_enable_private_segment 0
		.amdhsa_system_sgpr_workgroup_id_x 1
		.amdhsa_system_sgpr_workgroup_id_y 0
		.amdhsa_system_sgpr_workgroup_id_z 1
		.amdhsa_system_sgpr_workgroup_info 0
		.amdhsa_system_vgpr_workitem_id 1
		.amdhsa_next_free_vgpr 40
		.amdhsa_next_free_sgpr 40
		.amdhsa_named_barrier_count 0
		.amdhsa_reserve_vcc 1
		.amdhsa_float_round_mode_32 0
		.amdhsa_float_round_mode_16_64 0
		.amdhsa_float_denorm_mode_32 3
		.amdhsa_float_denorm_mode_16_64 3
		.amdhsa_fp16_overflow 0
		.amdhsa_memory_ordered 1
		.amdhsa_forward_progress 1
		.amdhsa_inst_pref_size 12
		.amdhsa_round_robin_scheduling 0
		.amdhsa_exception_fp_ieee_invalid_op 0
		.amdhsa_exception_fp_denorm_src 0
		.amdhsa_exception_fp_ieee_div_zero 0
		.amdhsa_exception_fp_ieee_overflow 0
		.amdhsa_exception_fp_ieee_underflow 0
		.amdhsa_exception_fp_ieee_inexact 0
		.amdhsa_exception_int_div_zero 0
	.end_amdhsa_kernel
	.section	.text._ZL19rocblas_sbmv_kernelILb1ELi64ELi16EPKdPKS1_PKPdEviiT2_lT3_lllS8_lllS7_lT4_llli,"axG",@progbits,_ZL19rocblas_sbmv_kernelILb1ELi64ELi16EPKdPKS1_PKPdEviiT2_lT3_lllS8_lllS7_lT4_llli,comdat
.Lfunc_end12:
	.size	_ZL19rocblas_sbmv_kernelILb1ELi64ELi16EPKdPKS1_PKPdEviiT2_lT3_lllS8_lllS7_lT4_llli, .Lfunc_end12-_ZL19rocblas_sbmv_kernelILb1ELi64ELi16EPKdPKS1_PKPdEviiT2_lT3_lllS8_lllS7_lT4_llli
                                        ; -- End function
	.set _ZL19rocblas_sbmv_kernelILb1ELi64ELi16EPKdPKS1_PKPdEviiT2_lT3_lllS8_lllS7_lT4_llli.num_vgpr, 40
	.set _ZL19rocblas_sbmv_kernelILb1ELi64ELi16EPKdPKS1_PKPdEviiT2_lT3_lllS8_lllS7_lT4_llli.num_agpr, 0
	.set _ZL19rocblas_sbmv_kernelILb1ELi64ELi16EPKdPKS1_PKPdEviiT2_lT3_lllS8_lllS7_lT4_llli.numbered_sgpr, 40
	.set _ZL19rocblas_sbmv_kernelILb1ELi64ELi16EPKdPKS1_PKPdEviiT2_lT3_lllS8_lllS7_lT4_llli.num_named_barrier, 0
	.set _ZL19rocblas_sbmv_kernelILb1ELi64ELi16EPKdPKS1_PKPdEviiT2_lT3_lllS8_lllS7_lT4_llli.private_seg_size, 0
	.set _ZL19rocblas_sbmv_kernelILb1ELi64ELi16EPKdPKS1_PKPdEviiT2_lT3_lllS8_lllS7_lT4_llli.uses_vcc, 1
	.set _ZL19rocblas_sbmv_kernelILb1ELi64ELi16EPKdPKS1_PKPdEviiT2_lT3_lllS8_lllS7_lT4_llli.uses_flat_scratch, 0
	.set _ZL19rocblas_sbmv_kernelILb1ELi64ELi16EPKdPKS1_PKPdEviiT2_lT3_lllS8_lllS7_lT4_llli.has_dyn_sized_stack, 0
	.set _ZL19rocblas_sbmv_kernelILb1ELi64ELi16EPKdPKS1_PKPdEviiT2_lT3_lllS8_lllS7_lT4_llli.has_recursion, 0
	.set _ZL19rocblas_sbmv_kernelILb1ELi64ELi16EPKdPKS1_PKPdEviiT2_lT3_lllS8_lllS7_lT4_llli.has_indirect_call, 0
	.section	.AMDGPU.csdata,"",@progbits
; Kernel info:
; codeLenInByte = 1464
; TotalNumSgprs: 42
; NumVgprs: 40
; ScratchSize: 0
; MemoryBound: 1
; FloatMode: 240
; IeeeMode: 1
; LDSByteSize: 8192 bytes/workgroup (compile time only)
; SGPRBlocks: 0
; VGPRBlocks: 2
; NumSGPRsForWavesPerEU: 42
; NumVGPRsForWavesPerEU: 40
; NamedBarCnt: 0
; Occupancy: 16
; WaveLimiterHint : 1
; COMPUTE_PGM_RSRC2:SCRATCH_EN: 0
; COMPUTE_PGM_RSRC2:USER_SGPR: 2
; COMPUTE_PGM_RSRC2:TRAP_HANDLER: 0
; COMPUTE_PGM_RSRC2:TGID_X_EN: 1
; COMPUTE_PGM_RSRC2:TGID_Y_EN: 0
; COMPUTE_PGM_RSRC2:TGID_Z_EN: 1
; COMPUTE_PGM_RSRC2:TIDIG_COMP_CNT: 1
	.section	.text._ZL19rocblas_sbmv_kernelILb0ELi64ELi16EPKdPKS1_PKPdEviiT2_lT3_lllS8_lllS7_lT4_llli,"axG",@progbits,_ZL19rocblas_sbmv_kernelILb0ELi64ELi16EPKdPKS1_PKPdEviiT2_lT3_lllS8_lllS7_lT4_llli,comdat
	.globl	_ZL19rocblas_sbmv_kernelILb0ELi64ELi16EPKdPKS1_PKPdEviiT2_lT3_lllS8_lllS7_lT4_llli ; -- Begin function _ZL19rocblas_sbmv_kernelILb0ELi64ELi16EPKdPKS1_PKPdEviiT2_lT3_lllS8_lllS7_lT4_llli
	.p2align	8
	.type	_ZL19rocblas_sbmv_kernelILb0ELi64ELi16EPKdPKS1_PKPdEviiT2_lT3_lllS8_lllS7_lT4_llli,@function
_ZL19rocblas_sbmv_kernelILb0ELi64ELi16EPKdPKS1_PKPdEviiT2_lT3_lllS8_lllS7_lT4_llli: ; @_ZL19rocblas_sbmv_kernelILb0ELi64ELi16EPKdPKS1_PKPdEviiT2_lT3_lllS8_lllS7_lT4_llli
; %bb.0:
	s_clause 0x1
	s_load_b64 s[4:5], s[0:1], 0x9c
	s_load_b32 s33, s[0:1], 0x88
	s_bfe_u32 s2, ttmp6, 0x40014
	s_lshr_b32 s6, ttmp7, 16
	s_add_co_i32 s2, s2, 1
	s_bfe_u32 s3, ttmp6, 0x40008
	s_mul_i32 s7, s6, s2
	s_getreg_b32 s2, hwreg(HW_REG_IB_STS2, 6, 4)
	s_add_co_i32 s7, s3, s7
	s_mov_b32 s25, 0
	s_wait_kmcnt 0x0
	s_lshr_b32 s8, s4, 16
	s_and_b32 s3, s4, 0xffff
	s_and_b32 s4, s5, 0xffff
	s_mul_i32 s5, s8, s3
	s_cmp_eq_u32 s2, 0
	s_mul_i32 s5, s5, s4
	s_cselect_b32 s24, s6, s7
	s_cmp_lg_u32 s5, 0x400
	s_cselect_b32 s4, -1, 0
	s_cmp_ge_u32 s24, s33
	s_cselect_b32 s5, -1, 0
	s_delay_alu instid0(SALU_CYCLE_1) | instskip(NEXT) | instid1(SALU_CYCLE_1)
	s_or_b32 s4, s4, s5
	s_and_b32 vcc_lo, exec_lo, s4
	s_cbranch_vccnz .LBB13_37
; %bb.1:
	s_bfe_u32 s6, ttmp6, 0x4000c
	s_load_b64 s[4:5], s[0:1], 0x78
	s_add_co_i32 s6, s6, 1
	v_and_b32_e32 v1, 0x3ff, v0
	v_bfe_u32 v0, v0, 10, 10
	s_clause 0x1
	s_load_b64 s[30:31], s[0:1], 0x28
	s_load_b128 s[20:23], s[0:1], 0x38
	s_and_b32 s7, ttmp6, 15
	s_mul_i32 s6, ttmp9, s6
	v_mad_u32_u24 v7, v0, s3, v1
	s_add_co_i32 s7, s7, s6
	s_cmp_eq_u32 s2, 0
	s_load_b64 s[26:27], s[0:1], 0x0
	s_cselect_b32 s2, ttmp9, s7
	s_load_b256 s[12:19], s[0:1], 0x58
	s_lshl_b32 s2, s2, 6
	s_load_b64 s[28:29], s[0:1], 0x48
	v_and_or_b32 v0, v7, 63, s2
	v_dual_add_nc_u32 v10, s2, v7 :: v_dual_lshrrev_b32 v6, 6, v7
	v_cmp_gt_u32_e32 vcc_lo, 64, v7
	s_delay_alu instid0(VALU_DEP_2) | instskip(NEXT) | instid1(VALU_DEP_3)
	v_dual_ashrrev_i32 v1, 31, v0 :: v_dual_ashrrev_i32 v11, 31, v10
	v_sub_nc_u32_e32 v13, v0, v6
	s_wait_kmcnt 0x0
	s_lshl_b64 s[2:3], s[30:31], 3
	s_lshl_b64 s[22:23], s[22:23], 3
	v_mul_u64_e32 v[4:5], s[30:31], v[0:1]
	v_mul_u64_e32 v[2:3], s[4:5], v[10:11]
	v_lshlrev_b64_e32 v[8:9], 3, v[0:1]
	s_add_nc_u64 s[2:3], s[2:3], -8
	s_load_b256 s[4:11], s[0:1], 0x8
	v_dual_lshlrev_b32 v1, 3, v7 :: v_dual_mov_b32 v11, 0
	s_wait_xcnt 0x0
	v_cmp_gt_i32_e64 s0, s26, v6
	v_cmp_gt_i32_e64 s1, s26, v0
	v_mad_nc_u64_u32 v[8:9], v6, s2, v[8:9]
	v_cmp_gt_i32_e64 s2, s26, v10
	v_dual_mov_b32 v7, v11 :: v_dual_sub_nc_u32 v12, 0, v0
	s_lshl_b64 s[18:19], s[18:19], 3
	s_and_b32 s34, vcc_lo, s2
	v_mad_u32 v9, v6, s3, v9
	s_lshl_b64 s[2:3], s[30:31], 7
	s_mov_b64 s[30:31], 0xffffffffffffff80
	s_delay_alu instid0(SALU_CYCLE_1)
	s_add_nc_u64 s[30:31], s[2:3], s[30:31]
	s_wait_kmcnt 0x0
	s_lshl_b64 s[10:11], s[10:11], 3
	s_branch .LBB13_4
.LBB13_2:                               ;   in Loop: Header=BB13_4 Depth=1
	s_wait_xcnt 0x0
	s_or_b32 exec_lo, exec_lo, s3
.LBB13_3:                               ;   in Loop: Header=BB13_4 Depth=1
	s_add_co_i32 s24, s24, 0x10000
	s_delay_alu instid0(SALU_CYCLE_1)
	s_cmp_lt_u32 s24, s33
	s_cbranch_scc0 .LBB13_37
.LBB13_4:                               ; =>This Loop Header: Depth=1
                                        ;     Child Loop BB13_20 Depth 2
	s_mul_u64 s[2:3], s[6:7], s[24:25]
	s_wait_xcnt 0x0
	s_mul_u64 s[36:37], s[14:15], s[24:25]
	s_lshl_b64 s[2:3], s[2:3], 3
	s_lshl_b64 s[36:37], s[36:37], 3
	s_add_nc_u64 s[2:3], s[4:5], s[2:3]
	s_add_nc_u64 s[36:37], s[12:13], s[36:37]
	s_clause 0x1
	global_load_b64 v[16:17], v11, s[2:3]
	global_load_b64 v[14:15], v11, s[36:37]
	s_wait_loadcnt 0x1
	s_wait_xcnt 0x1
	v_cmp_eq_f64_e64 s2, 0, v[16:17]
	s_wait_loadcnt 0x0
	v_cmp_eq_f64_e32 vcc_lo, 1.0, v[14:15]
	s_and_b32 s3, s2, vcc_lo
	s_delay_alu instid0(SALU_CYCLE_1)
	s_and_b32 vcc_lo, exec_lo, s3
	s_cbranch_vccnz .LBB13_3
; %bb.5:                                ;   in Loop: Header=BB13_4 Depth=1
	v_cmp_neq_f64_e64 s3, 0, v[16:17]
	v_mov_b64_e32 v[20:21], 0
	v_mov_b64_e32 v[26:27], 0
	s_and_b32 vcc_lo, exec_lo, s2
	s_cbranch_vccnz .LBB13_7
; %bb.6:                                ;   in Loop: Header=BB13_4 Depth=1
	s_wait_xcnt 0x0
	s_lshl_b64 s[36:37], s[24:25], 3
	s_delay_alu instid0(SALU_CYCLE_1)
	s_add_nc_u64 s[36:37], s[8:9], s[36:37]
	global_load_b64 v[18:19], v11, s[36:37]
	s_wait_loadcnt 0x0
	v_add_nc_u64_e32 v[26:27], s[10:11], v[18:19]
.LBB13_7:                               ;   in Loop: Header=BB13_4 Depth=1
	s_and_not1_b32 vcc_lo, exec_lo, s3
	s_cbranch_vccnz .LBB13_9
; %bb.8:                                ;   in Loop: Header=BB13_4 Depth=1
	s_wait_xcnt 0x0
	s_lshl_b64 s[36:37], s[24:25], 3
	s_delay_alu instid0(SALU_CYCLE_1)
	s_add_nc_u64 s[36:37], s[20:21], s[36:37]
	global_load_b64 v[18:19], v11, s[36:37]
	s_wait_loadcnt 0x0
	v_add_nc_u64_e32 v[20:21], s[22:23], v[18:19]
.LBB13_9:                               ;   in Loop: Header=BB13_4 Depth=1
	s_wait_xcnt 0x0
	s_lshl_b64 s[36:37], s[24:25], 3
	s_and_not1_b32 vcc_lo, exec_lo, s2
	s_add_nc_u64 s[36:37], s[16:17], s[36:37]
	global_load_b64 v[18:19], v11, s[36:37]
	s_wait_loadcnt 0x0
	v_add_nc_u64_e32 v[18:19], s[18:19], v[18:19]
	s_cbranch_vccnz .LBB13_14
; %bb.10:                               ;   in Loop: Header=BB13_4 Depth=1
	s_mov_b32 s3, 0
	s_mov_b32 s2, 0
                                        ; implicit-def: $vgpr22_vgpr23
	s_wait_xcnt 0x0
	s_and_saveexec_b32 s35, s34
	s_cbranch_execz .LBB13_15
; %bb.11:                               ;   in Loop: Header=BB13_4 Depth=1
	v_cmp_eq_f64_e32 vcc_lo, 0, v[14:15]
	v_mov_b64_e32 v[22:23], 0
	s_cbranch_vccnz .LBB13_13
; %bb.12:                               ;   in Loop: Header=BB13_4 Depth=1
	v_lshl_add_u64 v[22:23], v[2:3], 3, v[18:19]
	flat_load_b64 v[22:23], v[22:23]
	s_wait_loadcnt_dscnt 0x0
	s_wait_xcnt 0x0
	v_mul_f64_e32 v[22:23], v[14:15], v[22:23]
.LBB13_13:                              ;   in Loop: Header=BB13_4 Depth=1
	s_mov_b32 s2, exec_lo
	s_or_b32 exec_lo, exec_lo, s35
	s_delay_alu instid0(SALU_CYCLE_1)
	s_and_b32 vcc_lo, exec_lo, s3
	s_cbranch_vccnz .LBB13_16
	s_branch .LBB13_35
.LBB13_14:                              ;   in Loop: Header=BB13_4 Depth=1
	s_mov_b32 s2, 0
                                        ; implicit-def: $vgpr22_vgpr23
	s_cbranch_execnz .LBB13_16
	s_branch .LBB13_35
.LBB13_15:                              ;   in Loop: Header=BB13_4 Depth=1
	s_or_b32 exec_lo, exec_lo, s35
	s_delay_alu instid0(SALU_CYCLE_1)
	s_and_b32 vcc_lo, exec_lo, s3
	s_cbranch_vccz .LBB13_35
.LBB13_16:                              ;   in Loop: Header=BB13_4 Depth=1
	v_mov_b64_e32 v[22:23], 0
	s_wait_xcnt 0x0
	s_and_saveexec_b32 s3, s0
	s_cbranch_execz .LBB13_30
; %bb.17:                               ;   in Loop: Header=BB13_4 Depth=1
	v_lshl_add_u64 v[24:25], v[4:5], 3, v[26:27]
	v_add_nc_u64_e32 v[26:27], v[26:27], v[8:9]
	v_mov_b64_e32 v[22:23], 0
	v_mov_b64_e32 v[28:29], v[6:7]
	v_dual_mov_b32 v34, v13 :: v_dual_mov_b32 v10, v6
	s_mov_b32 s35, 0
	s_branch .LBB13_20
.LBB13_18:                              ;   in Loop: Header=BB13_20 Depth=2
	s_wait_xcnt 0x0
	s_or_b32 exec_lo, exec_lo, s38
.LBB13_19:                              ;   in Loop: Header=BB13_20 Depth=2
	s_delay_alu instid0(SALU_CYCLE_1) | instskip(SKIP_4) | instid1(VALU_DEP_4)
	s_or_b32 exec_lo, exec_lo, s36
	v_add_nc_u64_e32 v[28:29], 16, v[28:29]
	v_add_nc_u64_e32 v[26:27], s[30:31], v[26:27]
	v_add_nc_u32_e32 v10, 16, v10
	v_add_nc_u32_e32 v34, -16, v34
	v_cmp_le_i32_e32 vcc_lo, s26, v28
	s_or_b32 s35, vcc_lo, s35
	s_delay_alu instid0(SALU_CYCLE_1)
	s_and_not1_b32 exec_lo, exec_lo, s35
	s_cbranch_execz .LBB13_29
.LBB13_20:                              ;   Parent Loop BB13_4 Depth=1
                                        ; =>  This Inner Loop Header: Depth=2
	s_and_saveexec_b32 s36, s1
	s_cbranch_execz .LBB13_19
; %bb.21:                               ;   in Loop: Header=BB13_20 Depth=2
	s_mov_b32 s37, 0
	s_mov_b32 s38, exec_lo
	v_cmpx_ge_i32_e64 v0, v28
	s_xor_b32 s38, exec_lo, s38
; %bb.22:                               ;   in Loop: Header=BB13_20 Depth=2
	v_cmp_ge_i32_e32 vcc_lo, s27, v34
	s_and_b32 s37, vcc_lo, exec_lo
; %bb.23:                               ;   in Loop: Header=BB13_20 Depth=2
	s_or_saveexec_b32 s38, s38
	v_mov_b64_e32 v[30:31], v[26:27]
	v_mov_b64_e32 v[32:33], v[28:29]
	s_xor_b32 exec_lo, exec_lo, s38
	s_cbranch_execz .LBB13_27
; %bb.24:                               ;   in Loop: Header=BB13_20 Depth=2
	v_add_nc_u32_e32 v30, v12, v28
	s_mov_b32 s40, s37
                                        ; implicit-def: $vgpr32_vgpr33
	s_delay_alu instid0(VALU_DEP_1)
	v_cmp_ge_i32_e32 vcc_lo, s27, v30
                                        ; implicit-def: $vgpr30_vgpr31
	s_and_saveexec_b32 s39, vcc_lo
; %bb.25:                               ;   in Loop: Header=BB13_20 Depth=2
	v_sub_nc_u32_e32 v30, v10, v0
	v_mov_b64_e32 v[32:33], v[10:11]
	s_or_b32 s40, s37, exec_lo
	s_delay_alu instid0(VALU_DEP_2) | instskip(NEXT) | instid1(VALU_DEP_1)
	v_ashrrev_i32_e32 v31, 31, v30
	v_lshl_add_u64 v[30:31], v[30:31], 3, v[24:25]
; %bb.26:                               ;   in Loop: Header=BB13_20 Depth=2
	s_or_b32 exec_lo, exec_lo, s39
	s_delay_alu instid0(SALU_CYCLE_1) | instskip(SKIP_1) | instid1(SALU_CYCLE_1)
	s_and_not1_b32 s37, s37, exec_lo
	s_and_b32 s39, s40, exec_lo
	s_or_b32 s37, s37, s39
.LBB13_27:                              ;   in Loop: Header=BB13_20 Depth=2
	s_or_b32 exec_lo, exec_lo, s38
	s_and_saveexec_b32 s38, s37
	s_cbranch_execz .LBB13_18
; %bb.28:                               ;   in Loop: Header=BB13_20 Depth=2
	s_delay_alu instid0(VALU_DEP_1) | instskip(NEXT) | instid1(VALU_DEP_1)
	v_mul_u64_e32 v[32:33], s[28:29], v[32:33]
	v_lshl_add_u64 v[32:33], v[32:33], 3, v[20:21]
	flat_load_b64 v[36:37], v[30:31]
	flat_load_b64 v[38:39], v[32:33]
	s_wait_loadcnt_dscnt 0x0
	v_fmac_f64_e32 v[22:23], v[36:37], v[38:39]
	s_branch .LBB13_18
.LBB13_29:                              ;   in Loop: Header=BB13_4 Depth=1
	s_or_b32 exec_lo, exec_lo, s35
.LBB13_30:                              ;   in Loop: Header=BB13_4 Depth=1
	s_delay_alu instid0(SALU_CYCLE_1)
	s_or_b32 exec_lo, exec_lo, s3
	ds_store_b64 v1, v[22:23]
	s_wait_dscnt 0x0
	s_barrier_signal -1
	s_barrier_wait -1
                                        ; implicit-def: $vgpr22_vgpr23
	s_and_saveexec_b32 s3, s34
	s_cbranch_execz .LBB13_34
; %bb.31:                               ;   in Loop: Header=BB13_4 Depth=1
	ds_load_2addr_stride64_b64 v[20:23], v1 offset1:1
	ds_load_2addr_stride64_b64 v[24:27], v1 offset0:2 offset1:3
	v_cmp_eq_f64_e32 vcc_lo, 0, v[14:15]
	s_wait_dscnt 0x1
	v_add_f64_e32 v[20:21], v[20:21], v[22:23]
	s_and_b32 vcc_lo, exec_lo, vcc_lo
	s_wait_dscnt 0x0
	s_delay_alu instid0(VALU_DEP_1) | instskip(NEXT) | instid1(VALU_DEP_1)
	v_add_f64_e32 v[20:21], v[24:25], v[20:21]
	v_add_f64_e32 v[28:29], v[26:27], v[20:21]
	ds_load_2addr_stride64_b64 v[20:23], v1 offset0:4 offset1:5
	ds_load_2addr_stride64_b64 v[24:27], v1 offset0:6 offset1:7
	s_wait_dscnt 0x1
	v_add_f64_e32 v[20:21], v[20:21], v[28:29]
	s_delay_alu instid0(VALU_DEP_1) | instskip(SKIP_1) | instid1(VALU_DEP_1)
	v_add_f64_e32 v[20:21], v[22:23], v[20:21]
	s_wait_dscnt 0x0
	v_add_f64_e32 v[20:21], v[24:25], v[20:21]
	s_delay_alu instid0(VALU_DEP_1) | instskip(SKIP_4) | instid1(VALU_DEP_1)
	v_add_f64_e32 v[28:29], v[26:27], v[20:21]
	ds_load_2addr_stride64_b64 v[20:23], v1 offset0:8 offset1:9
	ds_load_2addr_stride64_b64 v[24:27], v1 offset0:10 offset1:11
	s_wait_dscnt 0x1
	v_add_f64_e32 v[20:21], v[20:21], v[28:29]
	v_add_f64_e32 v[20:21], v[22:23], v[20:21]
	s_wait_dscnt 0x0
	s_delay_alu instid0(VALU_DEP_1) | instskip(NEXT) | instid1(VALU_DEP_1)
	v_add_f64_e32 v[20:21], v[24:25], v[20:21]
	v_add_f64_e32 v[28:29], v[26:27], v[20:21]
	ds_load_2addr_stride64_b64 v[20:23], v1 offset0:12 offset1:13
	ds_load_2addr_stride64_b64 v[24:27], v1 offset0:14 offset1:15
	s_wait_dscnt 0x1
	v_add_f64_e32 v[20:21], v[20:21], v[28:29]
	s_delay_alu instid0(VALU_DEP_1) | instskip(SKIP_1) | instid1(VALU_DEP_1)
	v_add_f64_e32 v[20:21], v[22:23], v[20:21]
	s_wait_dscnt 0x0
	v_add_f64_e32 v[20:21], v[24:25], v[20:21]
	s_delay_alu instid0(VALU_DEP_1) | instskip(NEXT) | instid1(VALU_DEP_1)
	v_add_f64_e32 v[20:21], v[26:27], v[20:21]
	v_mul_f64_e32 v[22:23], v[16:17], v[20:21]
	ds_store_b64 v1, v[20:21]
	s_cbranch_vccnz .LBB13_33
; %bb.32:                               ;   in Loop: Header=BB13_4 Depth=1
	v_lshl_add_u64 v[16:17], v[2:3], 3, v[18:19]
	flat_load_b64 v[16:17], v[16:17]
	s_wait_loadcnt_dscnt 0x0
	v_fmac_f64_e32 v[22:23], v[14:15], v[16:17]
.LBB13_33:                              ;   in Loop: Header=BB13_4 Depth=1
	s_or_b32 s2, s2, exec_lo
.LBB13_34:                              ;   in Loop: Header=BB13_4 Depth=1
	s_wait_xcnt 0x0
	s_or_b32 exec_lo, exec_lo, s3
.LBB13_35:                              ;   in Loop: Header=BB13_4 Depth=1
	s_wait_xcnt 0x0
	s_and_saveexec_b32 s3, s2
	s_cbranch_execz .LBB13_2
; %bb.36:                               ;   in Loop: Header=BB13_4 Depth=1
	v_lshl_add_u64 v[14:15], v[2:3], 3, v[18:19]
	flat_store_b64 v[14:15], v[22:23]
	s_branch .LBB13_2
.LBB13_37:
	s_endpgm
	.section	.rodata,"a",@progbits
	.p2align	6, 0x0
	.amdhsa_kernel _ZL19rocblas_sbmv_kernelILb0ELi64ELi16EPKdPKS1_PKPdEviiT2_lT3_lllS8_lllS7_lT4_llli
		.amdhsa_group_segment_fixed_size 8192
		.amdhsa_private_segment_fixed_size 0
		.amdhsa_kernarg_size 400
		.amdhsa_user_sgpr_count 2
		.amdhsa_user_sgpr_dispatch_ptr 0
		.amdhsa_user_sgpr_queue_ptr 0
		.amdhsa_user_sgpr_kernarg_segment_ptr 1
		.amdhsa_user_sgpr_dispatch_id 0
		.amdhsa_user_sgpr_kernarg_preload_length 0
		.amdhsa_user_sgpr_kernarg_preload_offset 0
		.amdhsa_user_sgpr_private_segment_size 0
		.amdhsa_wavefront_size32 1
		.amdhsa_uses_dynamic_stack 0
		.amdhsa_enable_private_segment 0
		.amdhsa_system_sgpr_workgroup_id_x 1
		.amdhsa_system_sgpr_workgroup_id_y 0
		.amdhsa_system_sgpr_workgroup_id_z 1
		.amdhsa_system_sgpr_workgroup_info 0
		.amdhsa_system_vgpr_workitem_id 1
		.amdhsa_next_free_vgpr 40
		.amdhsa_next_free_sgpr 41
		.amdhsa_named_barrier_count 0
		.amdhsa_reserve_vcc 1
		.amdhsa_float_round_mode_32 0
		.amdhsa_float_round_mode_16_64 0
		.amdhsa_float_denorm_mode_32 3
		.amdhsa_float_denorm_mode_16_64 3
		.amdhsa_fp16_overflow 0
		.amdhsa_memory_ordered 1
		.amdhsa_forward_progress 1
		.amdhsa_inst_pref_size 12
		.amdhsa_round_robin_scheduling 0
		.amdhsa_exception_fp_ieee_invalid_op 0
		.amdhsa_exception_fp_denorm_src 0
		.amdhsa_exception_fp_ieee_div_zero 0
		.amdhsa_exception_fp_ieee_overflow 0
		.amdhsa_exception_fp_ieee_underflow 0
		.amdhsa_exception_fp_ieee_inexact 0
		.amdhsa_exception_int_div_zero 0
	.end_amdhsa_kernel
	.section	.text._ZL19rocblas_sbmv_kernelILb0ELi64ELi16EPKdPKS1_PKPdEviiT2_lT3_lllS8_lllS7_lT4_llli,"axG",@progbits,_ZL19rocblas_sbmv_kernelILb0ELi64ELi16EPKdPKS1_PKPdEviiT2_lT3_lllS8_lllS7_lT4_llli,comdat
.Lfunc_end13:
	.size	_ZL19rocblas_sbmv_kernelILb0ELi64ELi16EPKdPKS1_PKPdEviiT2_lT3_lllS8_lllS7_lT4_llli, .Lfunc_end13-_ZL19rocblas_sbmv_kernelILb0ELi64ELi16EPKdPKS1_PKPdEviiT2_lT3_lllS8_lllS7_lT4_llli
                                        ; -- End function
	.set _ZL19rocblas_sbmv_kernelILb0ELi64ELi16EPKdPKS1_PKPdEviiT2_lT3_lllS8_lllS7_lT4_llli.num_vgpr, 40
	.set _ZL19rocblas_sbmv_kernelILb0ELi64ELi16EPKdPKS1_PKPdEviiT2_lT3_lllS8_lllS7_lT4_llli.num_agpr, 0
	.set _ZL19rocblas_sbmv_kernelILb0ELi64ELi16EPKdPKS1_PKPdEviiT2_lT3_lllS8_lllS7_lT4_llli.numbered_sgpr, 41
	.set _ZL19rocblas_sbmv_kernelILb0ELi64ELi16EPKdPKS1_PKPdEviiT2_lT3_lllS8_lllS7_lT4_llli.num_named_barrier, 0
	.set _ZL19rocblas_sbmv_kernelILb0ELi64ELi16EPKdPKS1_PKPdEviiT2_lT3_lllS8_lllS7_lT4_llli.private_seg_size, 0
	.set _ZL19rocblas_sbmv_kernelILb0ELi64ELi16EPKdPKS1_PKPdEviiT2_lT3_lllS8_lllS7_lT4_llli.uses_vcc, 1
	.set _ZL19rocblas_sbmv_kernelILb0ELi64ELi16EPKdPKS1_PKPdEviiT2_lT3_lllS8_lllS7_lT4_llli.uses_flat_scratch, 0
	.set _ZL19rocblas_sbmv_kernelILb0ELi64ELi16EPKdPKS1_PKPdEviiT2_lT3_lllS8_lllS7_lT4_llli.has_dyn_sized_stack, 0
	.set _ZL19rocblas_sbmv_kernelILb0ELi64ELi16EPKdPKS1_PKPdEviiT2_lT3_lllS8_lllS7_lT4_llli.has_recursion, 0
	.set _ZL19rocblas_sbmv_kernelILb0ELi64ELi16EPKdPKS1_PKPdEviiT2_lT3_lllS8_lllS7_lT4_llli.has_indirect_call, 0
	.section	.AMDGPU.csdata,"",@progbits
; Kernel info:
; codeLenInByte = 1436
; TotalNumSgprs: 43
; NumVgprs: 40
; ScratchSize: 0
; MemoryBound: 1
; FloatMode: 240
; IeeeMode: 1
; LDSByteSize: 8192 bytes/workgroup (compile time only)
; SGPRBlocks: 0
; VGPRBlocks: 2
; NumSGPRsForWavesPerEU: 43
; NumVGPRsForWavesPerEU: 40
; NamedBarCnt: 0
; Occupancy: 16
; WaveLimiterHint : 1
; COMPUTE_PGM_RSRC2:SCRATCH_EN: 0
; COMPUTE_PGM_RSRC2:USER_SGPR: 2
; COMPUTE_PGM_RSRC2:TRAP_HANDLER: 0
; COMPUTE_PGM_RSRC2:TGID_X_EN: 1
; COMPUTE_PGM_RSRC2:TGID_Y_EN: 0
; COMPUTE_PGM_RSRC2:TGID_Z_EN: 1
; COMPUTE_PGM_RSRC2:TIDIG_COMP_CNT: 1
	.section	.text._ZL19rocblas_sbmv_kernelILb1ELi64ELi16EdPKPKdPKPdEviiT2_lT3_lllS8_lllS7_lT4_llli,"axG",@progbits,_ZL19rocblas_sbmv_kernelILb1ELi64ELi16EdPKPKdPKPdEviiT2_lT3_lllS8_lllS7_lT4_llli,comdat
	.globl	_ZL19rocblas_sbmv_kernelILb1ELi64ELi16EdPKPKdPKPdEviiT2_lT3_lllS8_lllS7_lT4_llli ; -- Begin function _ZL19rocblas_sbmv_kernelILb1ELi64ELi16EdPKPKdPKPdEviiT2_lT3_lllS8_lllS7_lT4_llli
	.p2align	8
	.type	_ZL19rocblas_sbmv_kernelILb1ELi64ELi16EdPKPKdPKPdEviiT2_lT3_lllS8_lllS7_lT4_llli,@function
_ZL19rocblas_sbmv_kernelILb1ELi64ELi16EdPKPKdPKPdEviiT2_lT3_lllS8_lllS7_lT4_llli: ; @_ZL19rocblas_sbmv_kernelILb1ELi64ELi16EdPKPKdPKPdEviiT2_lT3_lllS8_lllS7_lT4_llli
; %bb.0:
	s_clause 0x1
	s_load_b64 s[4:5], s[0:1], 0x9c
	s_load_b32 s26, s[0:1], 0x88
	s_bfe_u32 s2, ttmp6, 0x40014
	s_lshr_b32 s6, ttmp7, 16
	s_add_co_i32 s2, s2, 1
	s_bfe_u32 s3, ttmp6, 0x40008
	s_mul_i32 s7, s6, s2
	s_getreg_b32 s2, hwreg(HW_REG_IB_STS2, 6, 4)
	s_add_co_i32 s7, s3, s7
	s_mov_b32 s21, 0
	s_wait_kmcnt 0x0
	s_lshr_b32 s8, s4, 16
	s_and_b32 s3, s4, 0xffff
	s_and_b32 s4, s5, 0xffff
	s_mul_i32 s5, s8, s3
	s_cmp_eq_u32 s2, 0
	s_mul_i32 s5, s5, s4
	s_cselect_b32 s20, s6, s7
	s_cmp_lg_u32 s5, 0x400
	s_cselect_b32 s4, -1, 0
	s_cmp_ge_u32 s20, s26
	s_cselect_b32 s5, -1, 0
	s_delay_alu instid0(SALU_CYCLE_1) | instskip(NEXT) | instid1(SALU_CYCLE_1)
	s_or_b32 s4, s4, s5
	s_and_b32 vcc_lo, exec_lo, s4
	s_cbranch_vccnz .LBB14_40
; %bb.1:
	s_clause 0x2
	s_load_b64 s[22:23], s[0:1], 0x58
	s_load_b128 s[4:7], s[0:1], 0x0
	s_load_b128 s[8:11], s[0:1], 0x18
	v_and_b32_e32 v2, 0x3ff, v0
	v_bfe_u32 v0, v0, 10, 10
	s_bfe_u32 s18, ttmp6, 0x4000c
	s_clause 0x1
	s_load_b64 s[30:31], s[0:1], 0x28
	s_load_b128 s[12:15], s[0:1], 0x38
	s_add_co_i32 s18, s18, 1
	s_load_b64 s[24:25], s[0:1], 0x78
	v_mad_u32_u24 v0, v0, s3, v2
	v_mov_b32_e32 v1, 0
	s_and_b32 s3, ttmp6, 15
	s_mul_i32 s18, ttmp9, s18
	s_delay_alu instid0(SALU_CYCLE_1) | instskip(NEXT) | instid1(VALU_DEP_1)
	s_add_co_i32 s3, s3, s18
	v_dual_mov_b32 v3, v1 :: v_dual_lshrrev_b32 v2, 6, v0
	v_and_b32_e32 v12, 63, v0
	v_cmp_gt_u32_e32 vcc_lo, 64, v0
	s_wait_kmcnt 0x0
	v_cmp_neq_f64_e64 s16, s[22:23], 1.0
	v_cmp_neq_f64_e64 s17, s[6:7], 0
	v_mul_u64_e32 v[10:11], s[30:31], v[2:3]
	s_or_b32 s27, s17, s16
	s_cmp_eq_u32 s2, 0
	v_cndmask_b32_e64 v13, 0, 1, s17
	s_cselect_b32 s2, ttmp9, s3
	s_load_b128 s[16:19], s[0:1], 0x68
	s_lshl_b32 s29, s2, 6
	s_delay_alu instid0(VALU_DEP_2) | instskip(SKIP_4) | instid1(VALU_DEP_1)
	v_lshlrev_b64_e32 v[10:11], 3, v[10:11]
	v_add_nc_u32_e32 v14, s29, v0
	v_or_b32_e32 v4, s29, v12
	s_lshl_b64 s[10:11], s[10:11], 3
	s_lshl_b64 s[14:15], s[14:15], 3
	v_ashrrev_i32_e32 v5, 31, v4
	s_delay_alu instid0(VALU_DEP_1) | instskip(SKIP_2) | instid1(VALU_DEP_2)
	v_mul_u64_e32 v[8:9], s[30:31], v[4:5]
	v_dual_lshlrev_b32 v5, 3, v0 :: v_dual_ashrrev_i32 v15, 31, v14
	v_cmp_gt_i32_e64 s2, s4, v14
	v_mul_u64_e32 v[6:7], s[24:25], v[14:15]
	v_add3_u32 v14, s5, s29, v12
	v_sub_nc_u32_e32 v12, s5, v12
	v_cmp_eq_f64_e64 s5, s[6:7], 0
	s_load_b64 s[24:25], s[0:1], 0x48
	s_wait_xcnt 0x0
	v_cmp_gt_i32_e64 s0, s4, v2
	v_cmp_gt_i32_e64 s1, s4, v4
	v_subrev_nc_u32_e32 v12, s29, v12
	v_cmp_neq_f64_e64 s29, s[22:23], 0
	v_sub_nc_u32_e32 v34, v14, v2
	s_and_b32 s28, vcc_lo, s2
	s_lshl_b64 s[2:3], s[30:31], 7
	s_wait_kmcnt 0x0
	s_lshl_b64 s[18:19], s[18:19], 3
	s_branch .LBB14_4
.LBB14_2:                               ;   in Loop: Header=BB14_4 Depth=1
	s_wait_xcnt 0x0
	s_or_b32 exec_lo, exec_lo, s31
.LBB14_3:                               ;   in Loop: Header=BB14_4 Depth=1
	s_add_co_i32 s20, s20, 0x10000
	s_delay_alu instid0(SALU_CYCLE_1)
	s_cmp_lt_u32 s20, s26
	s_cbranch_scc0 .LBB14_40
.LBB14_4:                               ; =>This Loop Header: Depth=1
                                        ;     Child Loop BB14_23 Depth 2
	s_and_not1_b32 vcc_lo, exec_lo, s27
	s_cbranch_vccnz .LBB14_3
; %bb.5:                                ;   in Loop: Header=BB14_4 Depth=1
	s_and_not1_b32 vcc_lo, exec_lo, s5
	s_cbranch_vccnz .LBB14_7
; %bb.6:                                ;   in Loop: Header=BB14_4 Depth=1
	v_mov_b64_e32 v[16:17], 0
	v_mov_b64_e32 v[22:23], 0
	s_cbranch_execz .LBB14_8
	s_branch .LBB14_9
.LBB14_7:                               ;   in Loop: Header=BB14_4 Depth=1
	v_mov_b64_e32 v[16:17], 0
	v_mov_b64_e32 v[22:23], 0
.LBB14_8:                               ;   in Loop: Header=BB14_4 Depth=1
	s_lshl_b64 s[30:31], s[20:21], 3
	s_delay_alu instid0(SALU_CYCLE_1)
	s_add_nc_u64 s[30:31], s[8:9], s[30:31]
	global_load_b64 v[14:15], v1, s[30:31]
	s_wait_loadcnt 0x0
	v_add_nc_u64_e32 v[22:23], s[10:11], v[14:15]
.LBB14_9:                               ;   in Loop: Header=BB14_4 Depth=1
	v_cmp_ne_u32_e32 vcc_lo, 1, v13
	s_cbranch_vccnz .LBB14_11
; %bb.10:                               ;   in Loop: Header=BB14_4 Depth=1
	s_wait_xcnt 0x0
	s_lshl_b64 s[30:31], s[20:21], 3
	s_delay_alu instid0(SALU_CYCLE_1)
	s_add_nc_u64 s[30:31], s[12:13], s[30:31]
	global_load_b64 v[14:15], v1, s[30:31]
	s_wait_loadcnt 0x0
	v_add_nc_u64_e32 v[16:17], s[14:15], v[14:15]
.LBB14_11:                              ;   in Loop: Header=BB14_4 Depth=1
	s_wait_xcnt 0x0
	s_lshl_b64 s[30:31], s[20:21], 3
	s_and_not1_b32 vcc_lo, exec_lo, s5
	s_add_nc_u64 s[30:31], s[16:17], s[30:31]
	global_load_b64 v[14:15], v1, s[30:31]
	s_wait_loadcnt 0x0
	v_add_nc_u64_e32 v[14:15], s[18:19], v[14:15]
	s_cbranch_vccnz .LBB14_15
; %bb.12:                               ;   in Loop: Header=BB14_4 Depth=1
	s_wait_xcnt 0x0
	s_mov_b32 s31, 0
	s_mov_b32 s30, 0
                                        ; implicit-def: $vgpr18_vgpr19
	s_and_saveexec_b32 s33, s28
	s_cbranch_execz .LBB14_16
; %bb.13:                               ;   in Loop: Header=BB14_4 Depth=1
	s_and_not1_b32 vcc_lo, exec_lo, s29
	s_cbranch_vccnz .LBB14_17
; %bb.14:                               ;   in Loop: Header=BB14_4 Depth=1
	v_lshl_add_u64 v[18:19], v[6:7], 3, v[14:15]
	flat_load_b64 v[18:19], v[18:19]
	s_wait_loadcnt_dscnt 0x0
	s_wait_xcnt 0x0
	v_mul_f64_e32 v[18:19], s[22:23], v[18:19]
	s_branch .LBB14_18
.LBB14_15:                              ;   in Loop: Header=BB14_4 Depth=1
	s_wait_xcnt 0x0
	s_mov_b32 s30, 0
                                        ; implicit-def: $vgpr18_vgpr19
	s_cbranch_execnz .LBB14_19
	s_branch .LBB14_38
.LBB14_16:                              ;   in Loop: Header=BB14_4 Depth=1
	s_or_b32 exec_lo, exec_lo, s33
	s_delay_alu instid0(SALU_CYCLE_1)
	s_and_b32 vcc_lo, exec_lo, s31
	s_cbranch_vccnz .LBB14_19
	s_branch .LBB14_38
.LBB14_17:                              ;   in Loop: Header=BB14_4 Depth=1
	v_mov_b64_e32 v[18:19], 0
.LBB14_18:                              ;   in Loop: Header=BB14_4 Depth=1
	s_mov_b32 s30, exec_lo
	s_or_b32 exec_lo, exec_lo, s33
	s_delay_alu instid0(SALU_CYCLE_1)
	s_and_b32 vcc_lo, exec_lo, s31
	s_cbranch_vccz .LBB14_38
.LBB14_19:                              ;   in Loop: Header=BB14_4 Depth=1
	v_mov_b64_e32 v[18:19], 0
	s_and_saveexec_b32 s31, s0
	s_cbranch_execz .LBB14_33
; %bb.20:                               ;   in Loop: Header=BB14_4 Depth=1
	v_lshl_add_u64 v[20:21], v[8:9], 3, v[22:23]
	v_add_nc_u64_e32 v[22:23], v[22:23], v[10:11]
	v_mov_b64_e32 v[18:19], 0
	v_mov_b64_e32 v[24:25], v[2:3]
	v_dual_mov_b32 v0, v34 :: v_dual_mov_b32 v26, v2
	s_mov_b32 s33, 0
	s_branch .LBB14_23
.LBB14_21:                              ;   in Loop: Header=BB14_23 Depth=2
	s_wait_xcnt 0x0
	s_or_b32 exec_lo, exec_lo, s36
.LBB14_22:                              ;   in Loop: Header=BB14_23 Depth=2
	s_delay_alu instid0(SALU_CYCLE_1) | instskip(SKIP_3) | instid1(VALU_DEP_3)
	s_or_b32 exec_lo, exec_lo, s34
	v_add_nc_u64_e32 v[24:25], 16, v[24:25]
	v_add_nc_u64_e32 v[22:23], s[2:3], v[22:23]
	v_dual_add_nc_u32 v26, 16, v26 :: v_dual_add_nc_u32 v0, -16, v0
	v_cmp_le_i32_e32 vcc_lo, s4, v24
	s_or_b32 s33, vcc_lo, s33
	s_delay_alu instid0(SALU_CYCLE_1)
	s_and_not1_b32 exec_lo, exec_lo, s33
	s_cbranch_execz .LBB14_32
.LBB14_23:                              ;   Parent Loop BB14_4 Depth=1
                                        ; =>  This Inner Loop Header: Depth=2
	s_and_saveexec_b32 s34, s1
	s_cbranch_execz .LBB14_22
; %bb.24:                               ;   in Loop: Header=BB14_23 Depth=2
	s_mov_b32 s35, 0
	s_mov_b32 s36, exec_lo
                                        ; implicit-def: $vgpr28_vgpr29
	v_cmpx_le_i32_e64 v4, v24
	s_xor_b32 s36, exec_lo, s36
	s_cbranch_execnz .LBB14_27
; %bb.25:                               ;   in Loop: Header=BB14_23 Depth=2
	s_or_saveexec_b32 s36, s36
	v_mov_b64_e32 v[30:31], v[24:25]
	s_xor_b32 exec_lo, exec_lo, s36
	s_cbranch_execnz .LBB14_28
.LBB14_26:                              ;   in Loop: Header=BB14_23 Depth=2
	s_or_b32 exec_lo, exec_lo, s36
	s_and_saveexec_b32 s36, s35
	s_cbranch_execz .LBB14_21
	s_branch .LBB14_31
.LBB14_27:                              ;   in Loop: Header=BB14_23 Depth=2
	v_cmp_lt_i32_e32 vcc_lo, -1, v0
	v_lshl_add_u64 v[28:29], v[0:1], 3, v[22:23]
	s_and_b32 s35, vcc_lo, exec_lo
	s_or_saveexec_b32 s36, s36
	v_mov_b64_e32 v[30:31], v[24:25]
	s_xor_b32 exec_lo, exec_lo, s36
	s_cbranch_execz .LBB14_26
.LBB14_28:                              ;   in Loop: Header=BB14_23 Depth=2
	v_add_nc_u32_e32 v32, v12, v24
	s_mov_b32 s38, s35
	s_mov_b32 s37, exec_lo
                                        ; implicit-def: $vgpr28_vgpr29
                                        ; implicit-def: $vgpr30_vgpr31
	s_delay_alu instid0(VALU_DEP_1)
	v_cmpx_lt_i32_e32 -1, v32
; %bb.29:                               ;   in Loop: Header=BB14_23 Depth=2
	v_dual_mov_b32 v33, v1 :: v_dual_mov_b32 v27, v1
	s_or_b32 s38, s35, exec_lo
	s_delay_alu instid0(VALU_DEP_1) | instskip(NEXT) | instid1(VALU_DEP_2)
	v_lshl_add_u64 v[28:29], v[32:33], 3, v[20:21]
	v_mov_b64_e32 v[30:31], v[26:27]
; %bb.30:                               ;   in Loop: Header=BB14_23 Depth=2
	s_or_b32 exec_lo, exec_lo, s37
	s_delay_alu instid0(SALU_CYCLE_1) | instskip(SKIP_1) | instid1(SALU_CYCLE_1)
	s_and_not1_b32 s35, s35, exec_lo
	s_and_b32 s37, s38, exec_lo
	s_or_b32 s35, s35, s37
	s_or_b32 exec_lo, exec_lo, s36
	s_and_saveexec_b32 s36, s35
	s_cbranch_execz .LBB14_21
.LBB14_31:                              ;   in Loop: Header=BB14_23 Depth=2
	v_mul_u64_e32 v[30:31], s[24:25], v[30:31]
	s_delay_alu instid0(VALU_DEP_1)
	v_lshl_add_u64 v[30:31], v[30:31], 3, v[16:17]
	flat_load_b64 v[32:33], v[28:29]
	flat_load_b64 v[36:37], v[30:31]
	s_wait_loadcnt_dscnt 0x0
	v_fmac_f64_e32 v[18:19], v[32:33], v[36:37]
	s_branch .LBB14_21
.LBB14_32:                              ;   in Loop: Header=BB14_4 Depth=1
	s_or_b32 exec_lo, exec_lo, s33
.LBB14_33:                              ;   in Loop: Header=BB14_4 Depth=1
	s_delay_alu instid0(SALU_CYCLE_1)
	s_or_b32 exec_lo, exec_lo, s31
	ds_store_b64 v5, v[18:19]
	s_wait_dscnt 0x0
	s_barrier_signal -1
	s_barrier_wait -1
                                        ; implicit-def: $vgpr18_vgpr19
	s_and_saveexec_b32 s31, s28
	s_cbranch_execz .LBB14_37
; %bb.34:                               ;   in Loop: Header=BB14_4 Depth=1
	ds_load_2addr_stride64_b64 v[16:19], v5 offset1:1
	ds_load_2addr_stride64_b64 v[20:23], v5 offset0:2 offset1:3
	s_and_not1_b32 vcc_lo, exec_lo, s29
	s_wait_dscnt 0x1
	v_add_f64_e32 v[16:17], v[16:17], v[18:19]
	s_wait_dscnt 0x0
	s_delay_alu instid0(VALU_DEP_1) | instskip(NEXT) | instid1(VALU_DEP_1)
	v_add_f64_e32 v[16:17], v[20:21], v[16:17]
	v_add_f64_e32 v[24:25], v[22:23], v[16:17]
	ds_load_2addr_stride64_b64 v[16:19], v5 offset0:4 offset1:5
	ds_load_2addr_stride64_b64 v[20:23], v5 offset0:6 offset1:7
	s_wait_dscnt 0x1
	v_add_f64_e32 v[16:17], v[16:17], v[24:25]
	s_delay_alu instid0(VALU_DEP_1) | instskip(SKIP_1) | instid1(VALU_DEP_1)
	v_add_f64_e32 v[16:17], v[18:19], v[16:17]
	s_wait_dscnt 0x0
	v_add_f64_e32 v[16:17], v[20:21], v[16:17]
	s_delay_alu instid0(VALU_DEP_1) | instskip(SKIP_4) | instid1(VALU_DEP_1)
	v_add_f64_e32 v[24:25], v[22:23], v[16:17]
	ds_load_2addr_stride64_b64 v[16:19], v5 offset0:8 offset1:9
	ds_load_2addr_stride64_b64 v[20:23], v5 offset0:10 offset1:11
	s_wait_dscnt 0x1
	v_add_f64_e32 v[16:17], v[16:17], v[24:25]
	v_add_f64_e32 v[16:17], v[18:19], v[16:17]
	s_wait_dscnt 0x0
	s_delay_alu instid0(VALU_DEP_1) | instskip(NEXT) | instid1(VALU_DEP_1)
	v_add_f64_e32 v[16:17], v[20:21], v[16:17]
	v_add_f64_e32 v[24:25], v[22:23], v[16:17]
	ds_load_2addr_stride64_b64 v[16:19], v5 offset0:12 offset1:13
	ds_load_2addr_stride64_b64 v[20:23], v5 offset0:14 offset1:15
	s_wait_dscnt 0x1
	v_add_f64_e32 v[16:17], v[16:17], v[24:25]
	s_delay_alu instid0(VALU_DEP_1) | instskip(SKIP_1) | instid1(VALU_DEP_1)
	v_add_f64_e32 v[16:17], v[18:19], v[16:17]
	s_wait_dscnt 0x0
	v_add_f64_e32 v[16:17], v[20:21], v[16:17]
	s_delay_alu instid0(VALU_DEP_1) | instskip(NEXT) | instid1(VALU_DEP_1)
	v_add_f64_e32 v[16:17], v[22:23], v[16:17]
	v_mul_f64_e32 v[18:19], s[6:7], v[16:17]
	ds_store_b64 v5, v[16:17]
	s_cbranch_vccnz .LBB14_36
; %bb.35:                               ;   in Loop: Header=BB14_4 Depth=1
	v_lshl_add_u64 v[16:17], v[6:7], 3, v[14:15]
	flat_load_b64 v[16:17], v[16:17]
	s_wait_loadcnt_dscnt 0x0
	v_fmac_f64_e32 v[18:19], s[22:23], v[16:17]
.LBB14_36:                              ;   in Loop: Header=BB14_4 Depth=1
	s_or_b32 s30, s30, exec_lo
.LBB14_37:                              ;   in Loop: Header=BB14_4 Depth=1
	s_wait_xcnt 0x0
	s_or_b32 exec_lo, exec_lo, s31
.LBB14_38:                              ;   in Loop: Header=BB14_4 Depth=1
	s_and_saveexec_b32 s31, s30
	s_cbranch_execz .LBB14_2
; %bb.39:                               ;   in Loop: Header=BB14_4 Depth=1
	v_lshl_add_u64 v[14:15], v[6:7], 3, v[14:15]
	flat_store_b64 v[14:15], v[18:19]
	s_branch .LBB14_2
.LBB14_40:
	s_endpgm
	.section	.rodata,"a",@progbits
	.p2align	6, 0x0
	.amdhsa_kernel _ZL19rocblas_sbmv_kernelILb1ELi64ELi16EdPKPKdPKPdEviiT2_lT3_lllS8_lllS7_lT4_llli
		.amdhsa_group_segment_fixed_size 8192
		.amdhsa_private_segment_fixed_size 0
		.amdhsa_kernarg_size 400
		.amdhsa_user_sgpr_count 2
		.amdhsa_user_sgpr_dispatch_ptr 0
		.amdhsa_user_sgpr_queue_ptr 0
		.amdhsa_user_sgpr_kernarg_segment_ptr 1
		.amdhsa_user_sgpr_dispatch_id 0
		.amdhsa_user_sgpr_kernarg_preload_length 0
		.amdhsa_user_sgpr_kernarg_preload_offset 0
		.amdhsa_user_sgpr_private_segment_size 0
		.amdhsa_wavefront_size32 1
		.amdhsa_uses_dynamic_stack 0
		.amdhsa_enable_private_segment 0
		.amdhsa_system_sgpr_workgroup_id_x 1
		.amdhsa_system_sgpr_workgroup_id_y 0
		.amdhsa_system_sgpr_workgroup_id_z 1
		.amdhsa_system_sgpr_workgroup_info 0
		.amdhsa_system_vgpr_workitem_id 1
		.amdhsa_next_free_vgpr 38
		.amdhsa_next_free_sgpr 39
		.amdhsa_named_barrier_count 0
		.amdhsa_reserve_vcc 1
		.amdhsa_float_round_mode_32 0
		.amdhsa_float_round_mode_16_64 0
		.amdhsa_float_denorm_mode_32 3
		.amdhsa_float_denorm_mode_16_64 3
		.amdhsa_fp16_overflow 0
		.amdhsa_memory_ordered 1
		.amdhsa_forward_progress 1
		.amdhsa_inst_pref_size 12
		.amdhsa_round_robin_scheduling 0
		.amdhsa_exception_fp_ieee_invalid_op 0
		.amdhsa_exception_fp_denorm_src 0
		.amdhsa_exception_fp_ieee_div_zero 0
		.amdhsa_exception_fp_ieee_overflow 0
		.amdhsa_exception_fp_ieee_underflow 0
		.amdhsa_exception_fp_ieee_inexact 0
		.amdhsa_exception_int_div_zero 0
	.end_amdhsa_kernel
	.section	.text._ZL19rocblas_sbmv_kernelILb1ELi64ELi16EdPKPKdPKPdEviiT2_lT3_lllS8_lllS7_lT4_llli,"axG",@progbits,_ZL19rocblas_sbmv_kernelILb1ELi64ELi16EdPKPKdPKPdEviiT2_lT3_lllS8_lllS7_lT4_llli,comdat
.Lfunc_end14:
	.size	_ZL19rocblas_sbmv_kernelILb1ELi64ELi16EdPKPKdPKPdEviiT2_lT3_lllS8_lllS7_lT4_llli, .Lfunc_end14-_ZL19rocblas_sbmv_kernelILb1ELi64ELi16EdPKPKdPKPdEviiT2_lT3_lllS8_lllS7_lT4_llli
                                        ; -- End function
	.set _ZL19rocblas_sbmv_kernelILb1ELi64ELi16EdPKPKdPKPdEviiT2_lT3_lllS8_lllS7_lT4_llli.num_vgpr, 38
	.set _ZL19rocblas_sbmv_kernelILb1ELi64ELi16EdPKPKdPKPdEviiT2_lT3_lllS8_lllS7_lT4_llli.num_agpr, 0
	.set _ZL19rocblas_sbmv_kernelILb1ELi64ELi16EdPKPKdPKPdEviiT2_lT3_lllS8_lllS7_lT4_llli.numbered_sgpr, 39
	.set _ZL19rocblas_sbmv_kernelILb1ELi64ELi16EdPKPKdPKPdEviiT2_lT3_lllS8_lllS7_lT4_llli.num_named_barrier, 0
	.set _ZL19rocblas_sbmv_kernelILb1ELi64ELi16EdPKPKdPKPdEviiT2_lT3_lllS8_lllS7_lT4_llli.private_seg_size, 0
	.set _ZL19rocblas_sbmv_kernelILb1ELi64ELi16EdPKPKdPKPdEviiT2_lT3_lllS8_lllS7_lT4_llli.uses_vcc, 1
	.set _ZL19rocblas_sbmv_kernelILb1ELi64ELi16EdPKPKdPKPdEviiT2_lT3_lllS8_lllS7_lT4_llli.uses_flat_scratch, 0
	.set _ZL19rocblas_sbmv_kernelILb1ELi64ELi16EdPKPKdPKPdEviiT2_lT3_lllS8_lllS7_lT4_llli.has_dyn_sized_stack, 0
	.set _ZL19rocblas_sbmv_kernelILb1ELi64ELi16EdPKPKdPKPdEviiT2_lT3_lllS8_lllS7_lT4_llli.has_recursion, 0
	.set _ZL19rocblas_sbmv_kernelILb1ELi64ELi16EdPKPKdPKPdEviiT2_lT3_lllS8_lllS7_lT4_llli.has_indirect_call, 0
	.section	.AMDGPU.csdata,"",@progbits
; Kernel info:
; codeLenInByte = 1428
; TotalNumSgprs: 41
; NumVgprs: 38
; ScratchSize: 0
; MemoryBound: 1
; FloatMode: 240
; IeeeMode: 1
; LDSByteSize: 8192 bytes/workgroup (compile time only)
; SGPRBlocks: 0
; VGPRBlocks: 2
; NumSGPRsForWavesPerEU: 41
; NumVGPRsForWavesPerEU: 38
; NamedBarCnt: 0
; Occupancy: 16
; WaveLimiterHint : 1
; COMPUTE_PGM_RSRC2:SCRATCH_EN: 0
; COMPUTE_PGM_RSRC2:USER_SGPR: 2
; COMPUTE_PGM_RSRC2:TRAP_HANDLER: 0
; COMPUTE_PGM_RSRC2:TGID_X_EN: 1
; COMPUTE_PGM_RSRC2:TGID_Y_EN: 0
; COMPUTE_PGM_RSRC2:TGID_Z_EN: 1
; COMPUTE_PGM_RSRC2:TIDIG_COMP_CNT: 1
	.section	.text._ZL19rocblas_sbmv_kernelILb0ELi64ELi16EdPKPKdPKPdEviiT2_lT3_lllS8_lllS7_lT4_llli,"axG",@progbits,_ZL19rocblas_sbmv_kernelILb0ELi64ELi16EdPKPKdPKPdEviiT2_lT3_lllS8_lllS7_lT4_llli,comdat
	.globl	_ZL19rocblas_sbmv_kernelILb0ELi64ELi16EdPKPKdPKPdEviiT2_lT3_lllS8_lllS7_lT4_llli ; -- Begin function _ZL19rocblas_sbmv_kernelILb0ELi64ELi16EdPKPKdPKPdEviiT2_lT3_lllS8_lllS7_lT4_llli
	.p2align	8
	.type	_ZL19rocblas_sbmv_kernelILb0ELi64ELi16EdPKPKdPKPdEviiT2_lT3_lllS8_lllS7_lT4_llli,@function
_ZL19rocblas_sbmv_kernelILb0ELi64ELi16EdPKPKdPKPdEviiT2_lT3_lllS8_lllS7_lT4_llli: ; @_ZL19rocblas_sbmv_kernelILb0ELi64ELi16EdPKPKdPKPdEviiT2_lT3_lllS8_lllS7_lT4_llli
; %bb.0:
	s_clause 0x1
	s_load_b64 s[4:5], s[0:1], 0x9c
	s_load_b32 s26, s[0:1], 0x88
	s_bfe_u32 s2, ttmp6, 0x40014
	s_lshr_b32 s6, ttmp7, 16
	s_add_co_i32 s2, s2, 1
	s_bfe_u32 s3, ttmp6, 0x40008
	s_mul_i32 s7, s6, s2
	s_getreg_b32 s2, hwreg(HW_REG_IB_STS2, 6, 4)
	s_add_co_i32 s7, s3, s7
	s_mov_b32 s21, 0
	s_wait_kmcnt 0x0
	s_lshr_b32 s8, s4, 16
	s_and_b32 s3, s4, 0xffff
	s_and_b32 s4, s5, 0xffff
	s_mul_i32 s5, s8, s3
	s_cmp_eq_u32 s2, 0
	s_mul_i32 s5, s5, s4
	s_cselect_b32 s20, s6, s7
	s_cmp_lg_u32 s5, 0x400
	s_cselect_b32 s4, -1, 0
	s_cmp_ge_u32 s20, s26
	s_cselect_b32 s5, -1, 0
	s_delay_alu instid0(SALU_CYCLE_1) | instskip(NEXT) | instid1(SALU_CYCLE_1)
	s_or_b32 s4, s4, s5
	s_and_b32 vcc_lo, exec_lo, s4
	s_cbranch_vccnz .LBB15_40
; %bb.1:
	s_clause 0x2
	s_load_b64 s[22:23], s[0:1], 0x58
	s_load_b128 s[4:7], s[0:1], 0x0
	s_load_b128 s[8:11], s[0:1], 0x18
	s_bfe_u32 s14, ttmp6, 0x4000c
	v_and_b32_e32 v1, 0x3ff, v0
	s_add_co_i32 s14, s14, 1
	v_bfe_u32 v0, v0, 10, 10
	s_and_b32 s15, ttmp6, 15
	s_mul_i32 s14, ttmp9, s14
	s_clause 0x1
	s_load_b64 s[30:31], s[0:1], 0x28
	s_load_b64 s[24:25], s[0:1], 0x78
	s_add_co_i32 s15, s15, s14
	v_mad_u32_u24 v7, v0, s3, v1
	s_delay_alu instid0(VALU_DEP_1)
	v_cmp_gt_u32_e32 vcc_lo, 64, v7
	v_lshrrev_b32_e32 v6, 6, v7
	s_wait_kmcnt 0x0
	v_cmp_neq_f64_e64 s12, s[22:23], 1.0
	v_cmp_neq_f64_e64 s13, s[6:7], 0
	s_or_b32 s27, s13, s12
	s_cmp_eq_u32 s2, 0
	v_cndmask_b32_e64 v13, 0, 1, s13
	s_cselect_b32 s2, ttmp9, s15
	s_clause 0x1
	s_load_b128 s[12:15], s[0:1], 0x38
	s_load_b128 s[16:19], s[0:1], 0x68
	s_lshl_b32 s2, s2, 6
	s_lshl_b64 s[10:11], s[10:11], 3
	v_and_or_b32 v0, v7, 63, s2
	s_delay_alu instid0(VALU_DEP_1) | instskip(NEXT) | instid1(VALU_DEP_1)
	v_dual_add_nc_u32 v8, s2, v7 :: v_dual_ashrrev_i32 v1, 31, v0
	v_ashrrev_i32_e32 v9, 31, v8
	v_cmp_gt_i32_e64 s2, s4, v8
	v_dual_sub_nc_u32 v30, v0, v6 :: v_dual_sub_nc_u32 v12, 0, v0
	s_delay_alu instid0(VALU_DEP_4) | instskip(NEXT) | instid1(VALU_DEP_4)
	v_lshlrev_b64_e32 v[10:11], 3, v[0:1]
	v_mul_u64_e32 v[2:3], s[24:25], v[8:9]
	s_lshl_b64 s[24:25], s[30:31], 3
	v_mul_u64_e32 v[4:5], s[30:31], v[0:1]
	s_add_nc_u64 s[28:29], s[24:25], -8
	s_load_b64 s[24:25], s[0:1], 0x48
	s_wait_xcnt 0x0
	v_cmp_gt_i32_e64 s0, s4, v6
	v_mad_nc_u64_u32 v[8:9], v6, s28, v[10:11]
	s_and_b32 s28, vcc_lo, s2
	s_lshl_b64 s[2:3], s[30:31], 7
	s_mov_b64 s[30:31], 0xffffffffffffff80
	v_dual_mov_b32 v11, 0 :: v_dual_lshlrev_b32 v1, 3, v7
	s_add_nc_u64 s[2:3], s[2:3], s[30:31]
	v_cmp_neq_f64_e64 s30, s[22:23], 0
	v_cmp_gt_i32_e64 s1, s4, v0
	s_delay_alu instid0(VALU_DEP_3)
	v_mov_b32_e32 v7, v11
	s_wait_kmcnt 0x0
	s_lshl_b64 s[14:15], s[14:15], 3
	v_mad_u32 v9, v6, s29, v9
	v_cmp_eq_f64_e64 s29, s[6:7], 0
	s_lshl_b64 s[18:19], s[18:19], 3
	s_branch .LBB15_4
.LBB15_2:                               ;   in Loop: Header=BB15_4 Depth=1
	s_wait_xcnt 0x0
	s_or_b32 exec_lo, exec_lo, s33
.LBB15_3:                               ;   in Loop: Header=BB15_4 Depth=1
	s_add_co_i32 s20, s20, 0x10000
	s_delay_alu instid0(SALU_CYCLE_1)
	s_cmp_lt_u32 s20, s26
	s_cbranch_scc0 .LBB15_40
.LBB15_4:                               ; =>This Loop Header: Depth=1
                                        ;     Child Loop BB15_23 Depth 2
	s_and_not1_b32 vcc_lo, exec_lo, s27
	s_cbranch_vccnz .LBB15_3
; %bb.5:                                ;   in Loop: Header=BB15_4 Depth=1
	s_and_not1_b32 vcc_lo, exec_lo, s29
	s_cbranch_vccnz .LBB15_7
; %bb.6:                                ;   in Loop: Header=BB15_4 Depth=1
	v_mov_b64_e32 v[16:17], 0
	v_mov_b64_e32 v[22:23], 0
	s_cbranch_execz .LBB15_8
	s_branch .LBB15_9
.LBB15_7:                               ;   in Loop: Header=BB15_4 Depth=1
	v_mov_b64_e32 v[16:17], 0
	v_mov_b64_e32 v[22:23], 0
.LBB15_8:                               ;   in Loop: Header=BB15_4 Depth=1
	s_lshl_b64 s[34:35], s[20:21], 3
	s_delay_alu instid0(SALU_CYCLE_1)
	s_add_nc_u64 s[34:35], s[8:9], s[34:35]
	global_load_b64 v[14:15], v11, s[34:35]
	s_wait_loadcnt 0x0
	v_add_nc_u64_e32 v[22:23], s[10:11], v[14:15]
.LBB15_9:                               ;   in Loop: Header=BB15_4 Depth=1
	v_cmp_ne_u32_e32 vcc_lo, 1, v13
	s_cbranch_vccnz .LBB15_11
; %bb.10:                               ;   in Loop: Header=BB15_4 Depth=1
	s_wait_xcnt 0x0
	s_lshl_b64 s[34:35], s[20:21], 3
	s_delay_alu instid0(SALU_CYCLE_1)
	s_add_nc_u64 s[34:35], s[12:13], s[34:35]
	global_load_b64 v[14:15], v11, s[34:35]
	s_wait_loadcnt 0x0
	v_add_nc_u64_e32 v[16:17], s[14:15], v[14:15]
.LBB15_11:                              ;   in Loop: Header=BB15_4 Depth=1
	s_wait_xcnt 0x0
	s_lshl_b64 s[34:35], s[20:21], 3
	s_and_not1_b32 vcc_lo, exec_lo, s29
	s_add_nc_u64 s[34:35], s[16:17], s[34:35]
	global_load_b64 v[14:15], v11, s[34:35]
	s_wait_loadcnt 0x0
	v_add_nc_u64_e32 v[14:15], s[18:19], v[14:15]
	s_cbranch_vccnz .LBB15_15
; %bb.12:                               ;   in Loop: Header=BB15_4 Depth=1
	s_mov_b32 s33, 0
	s_mov_b32 s31, 0
                                        ; implicit-def: $vgpr18_vgpr19
	s_wait_xcnt 0x0
	s_and_saveexec_b32 s34, s28
	s_cbranch_execz .LBB15_16
; %bb.13:                               ;   in Loop: Header=BB15_4 Depth=1
	s_and_not1_b32 vcc_lo, exec_lo, s30
	s_cbranch_vccnz .LBB15_17
; %bb.14:                               ;   in Loop: Header=BB15_4 Depth=1
	v_lshl_add_u64 v[18:19], v[2:3], 3, v[14:15]
	flat_load_b64 v[18:19], v[18:19]
	s_wait_loadcnt_dscnt 0x0
	s_wait_xcnt 0x0
	v_mul_f64_e32 v[18:19], s[22:23], v[18:19]
	s_branch .LBB15_18
.LBB15_15:                              ;   in Loop: Header=BB15_4 Depth=1
	s_mov_b32 s31, 0
                                        ; implicit-def: $vgpr18_vgpr19
	s_cbranch_execnz .LBB15_19
	s_branch .LBB15_38
.LBB15_16:                              ;   in Loop: Header=BB15_4 Depth=1
	s_or_b32 exec_lo, exec_lo, s34
	s_delay_alu instid0(SALU_CYCLE_1)
	s_and_b32 vcc_lo, exec_lo, s33
	s_cbranch_vccnz .LBB15_19
	s_branch .LBB15_38
.LBB15_17:                              ;   in Loop: Header=BB15_4 Depth=1
	v_mov_b64_e32 v[18:19], 0
.LBB15_18:                              ;   in Loop: Header=BB15_4 Depth=1
	s_mov_b32 s31, exec_lo
	s_or_b32 exec_lo, exec_lo, s34
	s_delay_alu instid0(SALU_CYCLE_1)
	s_and_b32 vcc_lo, exec_lo, s33
	s_cbranch_vccz .LBB15_38
.LBB15_19:                              ;   in Loop: Header=BB15_4 Depth=1
	v_mov_b64_e32 v[18:19], 0
	s_wait_xcnt 0x0
	s_and_saveexec_b32 s33, s0
	s_cbranch_execz .LBB15_33
; %bb.20:                               ;   in Loop: Header=BB15_4 Depth=1
	v_lshl_add_u64 v[20:21], v[4:5], 3, v[22:23]
	v_add_nc_u64_e32 v[22:23], v[22:23], v[8:9]
	v_mov_b64_e32 v[18:19], 0
	v_mov_b64_e32 v[24:25], v[6:7]
	v_dual_mov_b32 v31, v30 :: v_dual_mov_b32 v10, v6
	s_mov_b32 s34, 0
	s_branch .LBB15_23
.LBB15_21:                              ;   in Loop: Header=BB15_23 Depth=2
	s_wait_xcnt 0x0
	s_or_b32 exec_lo, exec_lo, s37
.LBB15_22:                              ;   in Loop: Header=BB15_23 Depth=2
	s_delay_alu instid0(SALU_CYCLE_1) | instskip(SKIP_3) | instid1(VALU_DEP_3)
	s_or_b32 exec_lo, exec_lo, s35
	v_add_nc_u64_e32 v[24:25], 16, v[24:25]
	v_add_nc_u64_e32 v[22:23], s[2:3], v[22:23]
	v_dual_add_nc_u32 v10, 16, v10 :: v_dual_add_nc_u32 v31, -16, v31
	v_cmp_le_i32_e32 vcc_lo, s4, v24
	s_or_b32 s34, vcc_lo, s34
	s_delay_alu instid0(SALU_CYCLE_1)
	s_and_not1_b32 exec_lo, exec_lo, s34
	s_cbranch_execz .LBB15_32
.LBB15_23:                              ;   Parent Loop BB15_4 Depth=1
                                        ; =>  This Inner Loop Header: Depth=2
	s_and_saveexec_b32 s35, s1
	s_cbranch_execz .LBB15_22
; %bb.24:                               ;   in Loop: Header=BB15_23 Depth=2
	s_mov_b32 s36, 0
	s_mov_b32 s37, exec_lo
	v_cmpx_ge_i32_e64 v0, v24
	s_xor_b32 s37, exec_lo, s37
; %bb.25:                               ;   in Loop: Header=BB15_23 Depth=2
	v_cmp_ge_i32_e32 vcc_lo, s5, v31
	s_and_b32 s36, vcc_lo, exec_lo
; %bb.26:                               ;   in Loop: Header=BB15_23 Depth=2
	s_or_saveexec_b32 s37, s37
	v_mov_b64_e32 v[26:27], v[22:23]
	v_mov_b64_e32 v[28:29], v[24:25]
	s_xor_b32 exec_lo, exec_lo, s37
	s_cbranch_execz .LBB15_30
; %bb.27:                               ;   in Loop: Header=BB15_23 Depth=2
	v_add_nc_u32_e32 v26, v12, v24
	s_mov_b32 s39, s36
                                        ; implicit-def: $vgpr28_vgpr29
	s_delay_alu instid0(VALU_DEP_1)
	v_cmp_ge_i32_e32 vcc_lo, s5, v26
                                        ; implicit-def: $vgpr26_vgpr27
	s_and_saveexec_b32 s38, vcc_lo
; %bb.28:                               ;   in Loop: Header=BB15_23 Depth=2
	v_sub_nc_u32_e32 v26, v10, v0
	v_mov_b64_e32 v[28:29], v[10:11]
	s_or_b32 s39, s36, exec_lo
	s_delay_alu instid0(VALU_DEP_2) | instskip(NEXT) | instid1(VALU_DEP_1)
	v_ashrrev_i32_e32 v27, 31, v26
	v_lshl_add_u64 v[26:27], v[26:27], 3, v[20:21]
; %bb.29:                               ;   in Loop: Header=BB15_23 Depth=2
	s_or_b32 exec_lo, exec_lo, s38
	s_delay_alu instid0(SALU_CYCLE_1) | instskip(SKIP_1) | instid1(SALU_CYCLE_1)
	s_and_not1_b32 s36, s36, exec_lo
	s_and_b32 s38, s39, exec_lo
	s_or_b32 s36, s36, s38
.LBB15_30:                              ;   in Loop: Header=BB15_23 Depth=2
	s_or_b32 exec_lo, exec_lo, s37
	s_and_saveexec_b32 s37, s36
	s_cbranch_execz .LBB15_21
; %bb.31:                               ;   in Loop: Header=BB15_23 Depth=2
	s_delay_alu instid0(VALU_DEP_1) | instskip(NEXT) | instid1(VALU_DEP_1)
	v_mul_u64_e32 v[28:29], s[24:25], v[28:29]
	v_lshl_add_u64 v[28:29], v[28:29], 3, v[16:17]
	flat_load_b64 v[32:33], v[26:27]
	flat_load_b64 v[34:35], v[28:29]
	s_wait_loadcnt_dscnt 0x0
	v_fmac_f64_e32 v[18:19], v[32:33], v[34:35]
	s_branch .LBB15_21
.LBB15_32:                              ;   in Loop: Header=BB15_4 Depth=1
	s_or_b32 exec_lo, exec_lo, s34
.LBB15_33:                              ;   in Loop: Header=BB15_4 Depth=1
	s_delay_alu instid0(SALU_CYCLE_1)
	s_or_b32 exec_lo, exec_lo, s33
	ds_store_b64 v1, v[18:19]
	s_wait_dscnt 0x0
	s_barrier_signal -1
	s_barrier_wait -1
                                        ; implicit-def: $vgpr18_vgpr19
	s_and_saveexec_b32 s33, s28
	s_cbranch_execz .LBB15_37
; %bb.34:                               ;   in Loop: Header=BB15_4 Depth=1
	ds_load_2addr_stride64_b64 v[16:19], v1 offset1:1
	ds_load_2addr_stride64_b64 v[20:23], v1 offset0:2 offset1:3
	s_and_not1_b32 vcc_lo, exec_lo, s30
	s_wait_dscnt 0x1
	v_add_f64_e32 v[16:17], v[16:17], v[18:19]
	s_wait_dscnt 0x0
	s_delay_alu instid0(VALU_DEP_1) | instskip(NEXT) | instid1(VALU_DEP_1)
	v_add_f64_e32 v[16:17], v[20:21], v[16:17]
	v_add_f64_e32 v[24:25], v[22:23], v[16:17]
	ds_load_2addr_stride64_b64 v[16:19], v1 offset0:4 offset1:5
	ds_load_2addr_stride64_b64 v[20:23], v1 offset0:6 offset1:7
	s_wait_dscnt 0x1
	v_add_f64_e32 v[16:17], v[16:17], v[24:25]
	s_delay_alu instid0(VALU_DEP_1) | instskip(SKIP_1) | instid1(VALU_DEP_1)
	v_add_f64_e32 v[16:17], v[18:19], v[16:17]
	s_wait_dscnt 0x0
	v_add_f64_e32 v[16:17], v[20:21], v[16:17]
	s_delay_alu instid0(VALU_DEP_1) | instskip(SKIP_4) | instid1(VALU_DEP_1)
	v_add_f64_e32 v[24:25], v[22:23], v[16:17]
	ds_load_2addr_stride64_b64 v[16:19], v1 offset0:8 offset1:9
	ds_load_2addr_stride64_b64 v[20:23], v1 offset0:10 offset1:11
	s_wait_dscnt 0x1
	v_add_f64_e32 v[16:17], v[16:17], v[24:25]
	v_add_f64_e32 v[16:17], v[18:19], v[16:17]
	s_wait_dscnt 0x0
	s_delay_alu instid0(VALU_DEP_1) | instskip(NEXT) | instid1(VALU_DEP_1)
	v_add_f64_e32 v[16:17], v[20:21], v[16:17]
	v_add_f64_e32 v[24:25], v[22:23], v[16:17]
	ds_load_2addr_stride64_b64 v[16:19], v1 offset0:12 offset1:13
	ds_load_2addr_stride64_b64 v[20:23], v1 offset0:14 offset1:15
	s_wait_dscnt 0x1
	v_add_f64_e32 v[16:17], v[16:17], v[24:25]
	s_delay_alu instid0(VALU_DEP_1) | instskip(SKIP_1) | instid1(VALU_DEP_1)
	v_add_f64_e32 v[16:17], v[18:19], v[16:17]
	s_wait_dscnt 0x0
	v_add_f64_e32 v[16:17], v[20:21], v[16:17]
	s_delay_alu instid0(VALU_DEP_1) | instskip(NEXT) | instid1(VALU_DEP_1)
	v_add_f64_e32 v[16:17], v[22:23], v[16:17]
	v_mul_f64_e32 v[18:19], s[6:7], v[16:17]
	ds_store_b64 v1, v[16:17]
	s_cbranch_vccnz .LBB15_36
; %bb.35:                               ;   in Loop: Header=BB15_4 Depth=1
	v_lshl_add_u64 v[16:17], v[2:3], 3, v[14:15]
	flat_load_b64 v[16:17], v[16:17]
	s_wait_loadcnt_dscnt 0x0
	v_fmac_f64_e32 v[18:19], s[22:23], v[16:17]
.LBB15_36:                              ;   in Loop: Header=BB15_4 Depth=1
	s_or_b32 s31, s31, exec_lo
.LBB15_37:                              ;   in Loop: Header=BB15_4 Depth=1
	s_wait_xcnt 0x0
	s_or_b32 exec_lo, exec_lo, s33
.LBB15_38:                              ;   in Loop: Header=BB15_4 Depth=1
	s_wait_xcnt 0x0
	s_and_saveexec_b32 s33, s31
	s_cbranch_execz .LBB15_2
; %bb.39:                               ;   in Loop: Header=BB15_4 Depth=1
	v_lshl_add_u64 v[14:15], v[2:3], 3, v[14:15]
	flat_store_b64 v[14:15], v[18:19]
	s_branch .LBB15_2
.LBB15_40:
	s_endpgm
	.section	.rodata,"a",@progbits
	.p2align	6, 0x0
	.amdhsa_kernel _ZL19rocblas_sbmv_kernelILb0ELi64ELi16EdPKPKdPKPdEviiT2_lT3_lllS8_lllS7_lT4_llli
		.amdhsa_group_segment_fixed_size 8192
		.amdhsa_private_segment_fixed_size 0
		.amdhsa_kernarg_size 400
		.amdhsa_user_sgpr_count 2
		.amdhsa_user_sgpr_dispatch_ptr 0
		.amdhsa_user_sgpr_queue_ptr 0
		.amdhsa_user_sgpr_kernarg_segment_ptr 1
		.amdhsa_user_sgpr_dispatch_id 0
		.amdhsa_user_sgpr_kernarg_preload_length 0
		.amdhsa_user_sgpr_kernarg_preload_offset 0
		.amdhsa_user_sgpr_private_segment_size 0
		.amdhsa_wavefront_size32 1
		.amdhsa_uses_dynamic_stack 0
		.amdhsa_enable_private_segment 0
		.amdhsa_system_sgpr_workgroup_id_x 1
		.amdhsa_system_sgpr_workgroup_id_y 0
		.amdhsa_system_sgpr_workgroup_id_z 1
		.amdhsa_system_sgpr_workgroup_info 0
		.amdhsa_system_vgpr_workitem_id 1
		.amdhsa_next_free_vgpr 36
		.amdhsa_next_free_sgpr 40
		.amdhsa_named_barrier_count 0
		.amdhsa_reserve_vcc 1
		.amdhsa_float_round_mode_32 0
		.amdhsa_float_round_mode_16_64 0
		.amdhsa_float_denorm_mode_32 3
		.amdhsa_float_denorm_mode_16_64 3
		.amdhsa_fp16_overflow 0
		.amdhsa_memory_ordered 1
		.amdhsa_forward_progress 1
		.amdhsa_inst_pref_size 12
		.amdhsa_round_robin_scheduling 0
		.amdhsa_exception_fp_ieee_invalid_op 0
		.amdhsa_exception_fp_denorm_src 0
		.amdhsa_exception_fp_ieee_div_zero 0
		.amdhsa_exception_fp_ieee_overflow 0
		.amdhsa_exception_fp_ieee_underflow 0
		.amdhsa_exception_fp_ieee_inexact 0
		.amdhsa_exception_int_div_zero 0
	.end_amdhsa_kernel
	.section	.text._ZL19rocblas_sbmv_kernelILb0ELi64ELi16EdPKPKdPKPdEviiT2_lT3_lllS8_lllS7_lT4_llli,"axG",@progbits,_ZL19rocblas_sbmv_kernelILb0ELi64ELi16EdPKPKdPKPdEviiT2_lT3_lllS8_lllS7_lT4_llli,comdat
.Lfunc_end15:
	.size	_ZL19rocblas_sbmv_kernelILb0ELi64ELi16EdPKPKdPKPdEviiT2_lT3_lllS8_lllS7_lT4_llli, .Lfunc_end15-_ZL19rocblas_sbmv_kernelILb0ELi64ELi16EdPKPKdPKPdEviiT2_lT3_lllS8_lllS7_lT4_llli
                                        ; -- End function
	.set _ZL19rocblas_sbmv_kernelILb0ELi64ELi16EdPKPKdPKPdEviiT2_lT3_lllS8_lllS7_lT4_llli.num_vgpr, 36
	.set _ZL19rocblas_sbmv_kernelILb0ELi64ELi16EdPKPKdPKPdEviiT2_lT3_lllS8_lllS7_lT4_llli.num_agpr, 0
	.set _ZL19rocblas_sbmv_kernelILb0ELi64ELi16EdPKPKdPKPdEviiT2_lT3_lllS8_lllS7_lT4_llli.numbered_sgpr, 40
	.set _ZL19rocblas_sbmv_kernelILb0ELi64ELi16EdPKPKdPKPdEviiT2_lT3_lllS8_lllS7_lT4_llli.num_named_barrier, 0
	.set _ZL19rocblas_sbmv_kernelILb0ELi64ELi16EdPKPKdPKPdEviiT2_lT3_lllS8_lllS7_lT4_llli.private_seg_size, 0
	.set _ZL19rocblas_sbmv_kernelILb0ELi64ELi16EdPKPKdPKPdEviiT2_lT3_lllS8_lllS7_lT4_llli.uses_vcc, 1
	.set _ZL19rocblas_sbmv_kernelILb0ELi64ELi16EdPKPKdPKPdEviiT2_lT3_lllS8_lllS7_lT4_llli.uses_flat_scratch, 0
	.set _ZL19rocblas_sbmv_kernelILb0ELi64ELi16EdPKPKdPKPdEviiT2_lT3_lllS8_lllS7_lT4_llli.has_dyn_sized_stack, 0
	.set _ZL19rocblas_sbmv_kernelILb0ELi64ELi16EdPKPKdPKPdEviiT2_lT3_lllS8_lllS7_lT4_llli.has_recursion, 0
	.set _ZL19rocblas_sbmv_kernelILb0ELi64ELi16EdPKPKdPKPdEviiT2_lT3_lllS8_lllS7_lT4_llli.has_indirect_call, 0
	.section	.AMDGPU.csdata,"",@progbits
; Kernel info:
; codeLenInByte = 1420
; TotalNumSgprs: 42
; NumVgprs: 36
; ScratchSize: 0
; MemoryBound: 1
; FloatMode: 240
; IeeeMode: 1
; LDSByteSize: 8192 bytes/workgroup (compile time only)
; SGPRBlocks: 0
; VGPRBlocks: 2
; NumSGPRsForWavesPerEU: 42
; NumVGPRsForWavesPerEU: 36
; NamedBarCnt: 0
; Occupancy: 16
; WaveLimiterHint : 1
; COMPUTE_PGM_RSRC2:SCRATCH_EN: 0
; COMPUTE_PGM_RSRC2:USER_SGPR: 2
; COMPUTE_PGM_RSRC2:TRAP_HANDLER: 0
; COMPUTE_PGM_RSRC2:TGID_X_EN: 1
; COMPUTE_PGM_RSRC2:TGID_Y_EN: 0
; COMPUTE_PGM_RSRC2:TGID_Z_EN: 1
; COMPUTE_PGM_RSRC2:TIDIG_COMP_CNT: 1
	.section	.AMDGPU.gpr_maximums,"",@progbits
	.set amdgpu.max_num_vgpr, 0
	.set amdgpu.max_num_agpr, 0
	.set amdgpu.max_num_sgpr, 0
	.section	.AMDGPU.csdata,"",@progbits
	.type	__hip_cuid_9e0a32325d268ad4,@object ; @__hip_cuid_9e0a32325d268ad4
	.section	.bss,"aw",@nobits
	.globl	__hip_cuid_9e0a32325d268ad4
__hip_cuid_9e0a32325d268ad4:
	.byte	0                               ; 0x0
	.size	__hip_cuid_9e0a32325d268ad4, 1

	.ident	"AMD clang version 22.0.0git (https://github.com/RadeonOpenCompute/llvm-project roc-7.2.4 26084 f58b06dce1f9c15707c5f808fd002e18c2accf7e)"
	.section	".note.GNU-stack","",@progbits
	.addrsig
	.addrsig_sym __hip_cuid_9e0a32325d268ad4
	.amdgpu_metadata
---
amdhsa.kernels:
  - .args:
      - .offset:         0
        .size:           4
        .value_kind:     by_value
      - .offset:         4
        .size:           4
        .value_kind:     by_value
      - .address_space:  global
        .offset:         8
        .size:           8
        .value_kind:     global_buffer
      - .offset:         16
        .size:           8
        .value_kind:     by_value
      - .address_space:  global
        .offset:         24
        .size:           8
        .value_kind:     global_buffer
      - .offset:         32
        .size:           8
        .value_kind:     by_value
      - .offset:         40
        .size:           8
        .value_kind:     by_value
      - .offset:         48
        .size:           8
        .value_kind:     by_value
      - .address_space:  global
        .offset:         56
        .size:           8
        .value_kind:     global_buffer
      - .offset:         64
        .size:           8
        .value_kind:     by_value
      - .offset:         72
        .size:           8
        .value_kind:     by_value
      - .offset:         80
        .size:           8
        .value_kind:     by_value
      - .address_space:  global
        .offset:         88
        .size:           8
        .value_kind:     global_buffer
      - .offset:         96
        .size:           8
        .value_kind:     by_value
      - .address_space:  global
        .offset:         104
        .size:           8
        .value_kind:     global_buffer
      - .offset:         112
        .size:           8
        .value_kind:     by_value
      - .offset:         120
        .size:           8
        .value_kind:     by_value
      - .offset:         128
        .size:           8
        .value_kind:     by_value
      - .offset:         136
        .size:           4
        .value_kind:     by_value
      - .offset:         144
        .size:           4
        .value_kind:     hidden_block_count_x
      - .offset:         148
        .size:           4
        .value_kind:     hidden_block_count_y
      - .offset:         152
        .size:           4
        .value_kind:     hidden_block_count_z
      - .offset:         156
        .size:           2
        .value_kind:     hidden_group_size_x
      - .offset:         158
        .size:           2
        .value_kind:     hidden_group_size_y
      - .offset:         160
        .size:           2
        .value_kind:     hidden_group_size_z
      - .offset:         162
        .size:           2
        .value_kind:     hidden_remainder_x
      - .offset:         164
        .size:           2
        .value_kind:     hidden_remainder_y
      - .offset:         166
        .size:           2
        .value_kind:     hidden_remainder_z
      - .offset:         184
        .size:           8
        .value_kind:     hidden_global_offset_x
      - .offset:         192
        .size:           8
        .value_kind:     hidden_global_offset_y
      - .offset:         200
        .size:           8
        .value_kind:     hidden_global_offset_z
      - .offset:         208
        .size:           2
        .value_kind:     hidden_grid_dims
    .group_segment_fixed_size: 4096
    .kernarg_segment_align: 8
    .kernarg_segment_size: 400
    .language:       OpenCL C
    .language_version:
      - 2
      - 0
    .max_flat_workgroup_size: 1024
    .name:           _ZL19rocblas_sbmv_kernelILb1ELi64ELi16EPKfS1_PfEviiT2_lT3_lllS4_lllS3_lT4_llli
    .private_segment_fixed_size: 0
    .sgpr_count:     54
    .sgpr_spill_count: 0
    .symbol:         _ZL19rocblas_sbmv_kernelILb1ELi64ELi16EPKfS1_PfEviiT2_lT3_lllS4_lllS3_lT4_llli.kd
    .uniform_work_group_size: 1
    .uses_dynamic_stack: false
    .vgpr_count:     30
    .vgpr_spill_count: 0
    .wavefront_size: 32
  - .args:
      - .offset:         0
        .size:           4
        .value_kind:     by_value
      - .offset:         4
        .size:           4
        .value_kind:     by_value
      - .address_space:  global
        .offset:         8
        .size:           8
        .value_kind:     global_buffer
      - .offset:         16
        .size:           8
        .value_kind:     by_value
      - .address_space:  global
        .offset:         24
        .size:           8
        .value_kind:     global_buffer
      - .offset:         32
        .size:           8
        .value_kind:     by_value
      - .offset:         40
        .size:           8
        .value_kind:     by_value
      - .offset:         48
        .size:           8
        .value_kind:     by_value
      - .address_space:  global
        .offset:         56
        .size:           8
        .value_kind:     global_buffer
      - .offset:         64
        .size:           8
        .value_kind:     by_value
      - .offset:         72
        .size:           8
        .value_kind:     by_value
      - .offset:         80
        .size:           8
        .value_kind:     by_value
      - .address_space:  global
        .offset:         88
        .size:           8
        .value_kind:     global_buffer
      - .offset:         96
        .size:           8
        .value_kind:     by_value
      - .address_space:  global
        .offset:         104
        .size:           8
        .value_kind:     global_buffer
      - .offset:         112
        .size:           8
        .value_kind:     by_value
      - .offset:         120
        .size:           8
        .value_kind:     by_value
      - .offset:         128
        .size:           8
        .value_kind:     by_value
      - .offset:         136
        .size:           4
        .value_kind:     by_value
      - .offset:         144
        .size:           4
        .value_kind:     hidden_block_count_x
      - .offset:         148
        .size:           4
        .value_kind:     hidden_block_count_y
      - .offset:         152
        .size:           4
        .value_kind:     hidden_block_count_z
      - .offset:         156
        .size:           2
        .value_kind:     hidden_group_size_x
      - .offset:         158
        .size:           2
        .value_kind:     hidden_group_size_y
      - .offset:         160
        .size:           2
        .value_kind:     hidden_group_size_z
      - .offset:         162
        .size:           2
        .value_kind:     hidden_remainder_x
      - .offset:         164
        .size:           2
        .value_kind:     hidden_remainder_y
      - .offset:         166
        .size:           2
        .value_kind:     hidden_remainder_z
      - .offset:         184
        .size:           8
        .value_kind:     hidden_global_offset_x
      - .offset:         192
        .size:           8
        .value_kind:     hidden_global_offset_y
      - .offset:         200
        .size:           8
        .value_kind:     hidden_global_offset_z
      - .offset:         208
        .size:           2
        .value_kind:     hidden_grid_dims
    .group_segment_fixed_size: 4096
    .kernarg_segment_align: 8
    .kernarg_segment_size: 400
    .language:       OpenCL C
    .language_version:
      - 2
      - 0
    .max_flat_workgroup_size: 1024
    .name:           _ZL19rocblas_sbmv_kernelILb0ELi64ELi16EPKfS1_PfEviiT2_lT3_lllS4_lllS3_lT4_llli
    .private_segment_fixed_size: 0
    .sgpr_count:     54
    .sgpr_spill_count: 0
    .symbol:         _ZL19rocblas_sbmv_kernelILb0ELi64ELi16EPKfS1_PfEviiT2_lT3_lllS4_lllS3_lT4_llli.kd
    .uniform_work_group_size: 1
    .uses_dynamic_stack: false
    .vgpr_count:     29
    .vgpr_spill_count: 0
    .wavefront_size: 32
  - .args:
      - .offset:         0
        .size:           4
        .value_kind:     by_value
      - .offset:         4
        .size:           4
        .value_kind:     by_value
      - .offset:         8
        .size:           4
        .value_kind:     by_value
      - .offset:         16
        .size:           8
        .value_kind:     by_value
      - .address_space:  global
        .offset:         24
        .size:           8
        .value_kind:     global_buffer
      - .offset:         32
        .size:           8
        .value_kind:     by_value
      - .offset:         40
        .size:           8
        .value_kind:     by_value
      - .offset:         48
        .size:           8
        .value_kind:     by_value
      - .address_space:  global
        .offset:         56
        .size:           8
        .value_kind:     global_buffer
      - .offset:         64
        .size:           8
        .value_kind:     by_value
      - .offset:         72
        .size:           8
        .value_kind:     by_value
      - .offset:         80
        .size:           8
        .value_kind:     by_value
      - .offset:         88
        .size:           4
        .value_kind:     by_value
      - .offset:         96
        .size:           8
        .value_kind:     by_value
      - .address_space:  global
        .offset:         104
        .size:           8
        .value_kind:     global_buffer
      - .offset:         112
        .size:           8
        .value_kind:     by_value
      - .offset:         120
        .size:           8
        .value_kind:     by_value
      - .offset:         128
        .size:           8
        .value_kind:     by_value
      - .offset:         136
        .size:           4
        .value_kind:     by_value
      - .offset:         144
        .size:           4
        .value_kind:     hidden_block_count_x
      - .offset:         148
        .size:           4
        .value_kind:     hidden_block_count_y
      - .offset:         152
        .size:           4
        .value_kind:     hidden_block_count_z
      - .offset:         156
        .size:           2
        .value_kind:     hidden_group_size_x
      - .offset:         158
        .size:           2
        .value_kind:     hidden_group_size_y
      - .offset:         160
        .size:           2
        .value_kind:     hidden_group_size_z
      - .offset:         162
        .size:           2
        .value_kind:     hidden_remainder_x
      - .offset:         164
        .size:           2
        .value_kind:     hidden_remainder_y
      - .offset:         166
        .size:           2
        .value_kind:     hidden_remainder_z
      - .offset:         184
        .size:           8
        .value_kind:     hidden_global_offset_x
      - .offset:         192
        .size:           8
        .value_kind:     hidden_global_offset_y
      - .offset:         200
        .size:           8
        .value_kind:     hidden_global_offset_z
      - .offset:         208
        .size:           2
        .value_kind:     hidden_grid_dims
    .group_segment_fixed_size: 4096
    .kernarg_segment_align: 8
    .kernarg_segment_size: 400
    .language:       OpenCL C
    .language_version:
      - 2
      - 0
    .max_flat_workgroup_size: 1024
    .name:           _ZL19rocblas_sbmv_kernelILb1ELi64ELi16EfPKfPfEviiT2_lT3_lllS4_lllS3_lT4_llli
    .private_segment_fixed_size: 0
    .sgpr_count:     45
    .sgpr_spill_count: 0
    .symbol:         _ZL19rocblas_sbmv_kernelILb1ELi64ELi16EfPKfPfEviiT2_lT3_lllS4_lllS3_lT4_llli.kd
    .uniform_work_group_size: 1
    .uses_dynamic_stack: false
    .vgpr_count:     29
    .vgpr_spill_count: 0
    .wavefront_size: 32
  - .args:
      - .offset:         0
        .size:           4
        .value_kind:     by_value
      - .offset:         4
        .size:           4
        .value_kind:     by_value
      - .offset:         8
        .size:           4
        .value_kind:     by_value
      - .offset:         16
        .size:           8
        .value_kind:     by_value
      - .address_space:  global
        .offset:         24
        .size:           8
        .value_kind:     global_buffer
      - .offset:         32
        .size:           8
        .value_kind:     by_value
      - .offset:         40
        .size:           8
        .value_kind:     by_value
      - .offset:         48
        .size:           8
        .value_kind:     by_value
      - .address_space:  global
        .offset:         56
        .size:           8
        .value_kind:     global_buffer
      - .offset:         64
        .size:           8
        .value_kind:     by_value
      - .offset:         72
        .size:           8
        .value_kind:     by_value
      - .offset:         80
        .size:           8
        .value_kind:     by_value
      - .offset:         88
        .size:           4
        .value_kind:     by_value
      - .offset:         96
        .size:           8
        .value_kind:     by_value
      - .address_space:  global
        .offset:         104
        .size:           8
        .value_kind:     global_buffer
      - .offset:         112
        .size:           8
        .value_kind:     by_value
      - .offset:         120
        .size:           8
        .value_kind:     by_value
      - .offset:         128
        .size:           8
        .value_kind:     by_value
      - .offset:         136
        .size:           4
        .value_kind:     by_value
      - .offset:         144
        .size:           4
        .value_kind:     hidden_block_count_x
      - .offset:         148
        .size:           4
        .value_kind:     hidden_block_count_y
      - .offset:         152
        .size:           4
        .value_kind:     hidden_block_count_z
      - .offset:         156
        .size:           2
        .value_kind:     hidden_group_size_x
      - .offset:         158
        .size:           2
        .value_kind:     hidden_group_size_y
      - .offset:         160
        .size:           2
        .value_kind:     hidden_group_size_z
      - .offset:         162
        .size:           2
        .value_kind:     hidden_remainder_x
      - .offset:         164
        .size:           2
        .value_kind:     hidden_remainder_y
      - .offset:         166
        .size:           2
        .value_kind:     hidden_remainder_z
      - .offset:         184
        .size:           8
        .value_kind:     hidden_global_offset_x
      - .offset:         192
        .size:           8
        .value_kind:     hidden_global_offset_y
      - .offset:         200
        .size:           8
        .value_kind:     hidden_global_offset_z
      - .offset:         208
        .size:           2
        .value_kind:     hidden_grid_dims
    .group_segment_fixed_size: 4096
    .kernarg_segment_align: 8
    .kernarg_segment_size: 400
    .language:       OpenCL C
    .language_version:
      - 2
      - 0
    .max_flat_workgroup_size: 1024
    .name:           _ZL19rocblas_sbmv_kernelILb0ELi64ELi16EfPKfPfEviiT2_lT3_lllS4_lllS3_lT4_llli
    .private_segment_fixed_size: 0
    .sgpr_count:     46
    .sgpr_spill_count: 0
    .symbol:         _ZL19rocblas_sbmv_kernelILb0ELi64ELi16EfPKfPfEviiT2_lT3_lllS4_lllS3_lT4_llli.kd
    .uniform_work_group_size: 1
    .uses_dynamic_stack: false
    .vgpr_count:     28
    .vgpr_spill_count: 0
    .wavefront_size: 32
  - .args:
      - .offset:         0
        .size:           4
        .value_kind:     by_value
      - .offset:         4
        .size:           4
        .value_kind:     by_value
      - .address_space:  global
        .offset:         8
        .size:           8
        .value_kind:     global_buffer
      - .offset:         16
        .size:           8
        .value_kind:     by_value
      - .address_space:  global
        .offset:         24
        .size:           8
        .value_kind:     global_buffer
      - .offset:         32
        .size:           8
        .value_kind:     by_value
      - .offset:         40
        .size:           8
        .value_kind:     by_value
      - .offset:         48
        .size:           8
        .value_kind:     by_value
      - .address_space:  global
        .offset:         56
        .size:           8
        .value_kind:     global_buffer
      - .offset:         64
        .size:           8
        .value_kind:     by_value
      - .offset:         72
        .size:           8
        .value_kind:     by_value
      - .offset:         80
        .size:           8
        .value_kind:     by_value
      - .address_space:  global
        .offset:         88
        .size:           8
        .value_kind:     global_buffer
      - .offset:         96
        .size:           8
        .value_kind:     by_value
      - .address_space:  global
        .offset:         104
        .size:           8
        .value_kind:     global_buffer
      - .offset:         112
        .size:           8
        .value_kind:     by_value
      - .offset:         120
        .size:           8
        .value_kind:     by_value
      - .offset:         128
        .size:           8
        .value_kind:     by_value
      - .offset:         136
        .size:           4
        .value_kind:     by_value
      - .offset:         144
        .size:           4
        .value_kind:     hidden_block_count_x
      - .offset:         148
        .size:           4
        .value_kind:     hidden_block_count_y
      - .offset:         152
        .size:           4
        .value_kind:     hidden_block_count_z
      - .offset:         156
        .size:           2
        .value_kind:     hidden_group_size_x
      - .offset:         158
        .size:           2
        .value_kind:     hidden_group_size_y
      - .offset:         160
        .size:           2
        .value_kind:     hidden_group_size_z
      - .offset:         162
        .size:           2
        .value_kind:     hidden_remainder_x
      - .offset:         164
        .size:           2
        .value_kind:     hidden_remainder_y
      - .offset:         166
        .size:           2
        .value_kind:     hidden_remainder_z
      - .offset:         184
        .size:           8
        .value_kind:     hidden_global_offset_x
      - .offset:         192
        .size:           8
        .value_kind:     hidden_global_offset_y
      - .offset:         200
        .size:           8
        .value_kind:     hidden_global_offset_z
      - .offset:         208
        .size:           2
        .value_kind:     hidden_grid_dims
    .group_segment_fixed_size: 8192
    .kernarg_segment_align: 8
    .kernarg_segment_size: 400
    .language:       OpenCL C
    .language_version:
      - 2
      - 0
    .max_flat_workgroup_size: 1024
    .name:           _ZL19rocblas_sbmv_kernelILb1ELi64ELi16EPKdS1_PdEviiT2_lT3_lllS4_lllS3_lT4_llli
    .private_segment_fixed_size: 0
    .sgpr_count:     54
    .sgpr_spill_count: 0
    .symbol:         _ZL19rocblas_sbmv_kernelILb1ELi64ELi16EPKdS1_PdEviiT2_lT3_lllS4_lllS3_lT4_llli.kd
    .uniform_work_group_size: 1
    .uses_dynamic_stack: false
    .vgpr_count:     36
    .vgpr_spill_count: 0
    .wavefront_size: 32
  - .args:
      - .offset:         0
        .size:           4
        .value_kind:     by_value
      - .offset:         4
        .size:           4
        .value_kind:     by_value
      - .address_space:  global
        .offset:         8
        .size:           8
        .value_kind:     global_buffer
      - .offset:         16
        .size:           8
        .value_kind:     by_value
      - .address_space:  global
        .offset:         24
        .size:           8
        .value_kind:     global_buffer
      - .offset:         32
        .size:           8
        .value_kind:     by_value
      - .offset:         40
        .size:           8
        .value_kind:     by_value
      - .offset:         48
        .size:           8
        .value_kind:     by_value
      - .address_space:  global
        .offset:         56
        .size:           8
        .value_kind:     global_buffer
      - .offset:         64
        .size:           8
        .value_kind:     by_value
      - .offset:         72
        .size:           8
        .value_kind:     by_value
      - .offset:         80
        .size:           8
        .value_kind:     by_value
      - .address_space:  global
        .offset:         88
        .size:           8
        .value_kind:     global_buffer
      - .offset:         96
        .size:           8
        .value_kind:     by_value
      - .address_space:  global
        .offset:         104
        .size:           8
        .value_kind:     global_buffer
      - .offset:         112
        .size:           8
        .value_kind:     by_value
      - .offset:         120
        .size:           8
        .value_kind:     by_value
      - .offset:         128
        .size:           8
        .value_kind:     by_value
      - .offset:         136
        .size:           4
        .value_kind:     by_value
      - .offset:         144
        .size:           4
        .value_kind:     hidden_block_count_x
      - .offset:         148
        .size:           4
        .value_kind:     hidden_block_count_y
      - .offset:         152
        .size:           4
        .value_kind:     hidden_block_count_z
      - .offset:         156
        .size:           2
        .value_kind:     hidden_group_size_x
      - .offset:         158
        .size:           2
        .value_kind:     hidden_group_size_y
      - .offset:         160
        .size:           2
        .value_kind:     hidden_group_size_z
      - .offset:         162
        .size:           2
        .value_kind:     hidden_remainder_x
      - .offset:         164
        .size:           2
        .value_kind:     hidden_remainder_y
      - .offset:         166
        .size:           2
        .value_kind:     hidden_remainder_z
      - .offset:         184
        .size:           8
        .value_kind:     hidden_global_offset_x
      - .offset:         192
        .size:           8
        .value_kind:     hidden_global_offset_y
      - .offset:         200
        .size:           8
        .value_kind:     hidden_global_offset_z
      - .offset:         208
        .size:           2
        .value_kind:     hidden_grid_dims
    .group_segment_fixed_size: 8192
    .kernarg_segment_align: 8
    .kernarg_segment_size: 400
    .language:       OpenCL C
    .language_version:
      - 2
      - 0
    .max_flat_workgroup_size: 1024
    .name:           _ZL19rocblas_sbmv_kernelILb0ELi64ELi16EPKdS1_PdEviiT2_lT3_lllS4_lllS3_lT4_llli
    .private_segment_fixed_size: 0
    .sgpr_count:     54
    .sgpr_spill_count: 0
    .symbol:         _ZL19rocblas_sbmv_kernelILb0ELi64ELi16EPKdS1_PdEviiT2_lT3_lllS4_lllS3_lT4_llli.kd
    .uniform_work_group_size: 1
    .uses_dynamic_stack: false
    .vgpr_count:     36
    .vgpr_spill_count: 0
    .wavefront_size: 32
  - .args:
      - .offset:         0
        .size:           4
        .value_kind:     by_value
      - .offset:         4
        .size:           4
        .value_kind:     by_value
      - .offset:         8
        .size:           8
        .value_kind:     by_value
      - .offset:         16
        .size:           8
        .value_kind:     by_value
      - .address_space:  global
        .offset:         24
        .size:           8
        .value_kind:     global_buffer
      - .offset:         32
        .size:           8
        .value_kind:     by_value
      - .offset:         40
        .size:           8
        .value_kind:     by_value
      - .offset:         48
        .size:           8
        .value_kind:     by_value
      - .address_space:  global
        .offset:         56
        .size:           8
        .value_kind:     global_buffer
      - .offset:         64
        .size:           8
        .value_kind:     by_value
      - .offset:         72
        .size:           8
        .value_kind:     by_value
      - .offset:         80
        .size:           8
        .value_kind:     by_value
      - .offset:         88
        .size:           8
        .value_kind:     by_value
      - .offset:         96
        .size:           8
        .value_kind:     by_value
      - .address_space:  global
        .offset:         104
        .size:           8
        .value_kind:     global_buffer
      - .offset:         112
        .size:           8
        .value_kind:     by_value
      - .offset:         120
        .size:           8
        .value_kind:     by_value
      - .offset:         128
        .size:           8
        .value_kind:     by_value
      - .offset:         136
        .size:           4
        .value_kind:     by_value
      - .offset:         144
        .size:           4
        .value_kind:     hidden_block_count_x
      - .offset:         148
        .size:           4
        .value_kind:     hidden_block_count_y
      - .offset:         152
        .size:           4
        .value_kind:     hidden_block_count_z
      - .offset:         156
        .size:           2
        .value_kind:     hidden_group_size_x
      - .offset:         158
        .size:           2
        .value_kind:     hidden_group_size_y
      - .offset:         160
        .size:           2
        .value_kind:     hidden_group_size_z
      - .offset:         162
        .size:           2
        .value_kind:     hidden_remainder_x
      - .offset:         164
        .size:           2
        .value_kind:     hidden_remainder_y
      - .offset:         166
        .size:           2
        .value_kind:     hidden_remainder_z
      - .offset:         184
        .size:           8
        .value_kind:     hidden_global_offset_x
      - .offset:         192
        .size:           8
        .value_kind:     hidden_global_offset_y
      - .offset:         200
        .size:           8
        .value_kind:     hidden_global_offset_z
      - .offset:         208
        .size:           2
        .value_kind:     hidden_grid_dims
    .group_segment_fixed_size: 8192
    .kernarg_segment_align: 8
    .kernarg_segment_size: 400
    .language:       OpenCL C
    .language_version:
      - 2
      - 0
    .max_flat_workgroup_size: 1024
    .name:           _ZL19rocblas_sbmv_kernelILb1ELi64ELi16EdPKdPdEviiT2_lT3_lllS4_lllS3_lT4_llli
    .private_segment_fixed_size: 0
    .sgpr_count:     47
    .sgpr_spill_count: 0
    .symbol:         _ZL19rocblas_sbmv_kernelILb1ELi64ELi16EdPKdPdEviiT2_lT3_lllS4_lllS3_lT4_llli.kd
    .uniform_work_group_size: 1
    .uses_dynamic_stack: false
    .vgpr_count:     32
    .vgpr_spill_count: 0
    .wavefront_size: 32
  - .args:
      - .offset:         0
        .size:           4
        .value_kind:     by_value
      - .offset:         4
        .size:           4
        .value_kind:     by_value
      - .offset:         8
        .size:           8
        .value_kind:     by_value
      - .offset:         16
        .size:           8
        .value_kind:     by_value
      - .address_space:  global
        .offset:         24
        .size:           8
        .value_kind:     global_buffer
      - .offset:         32
        .size:           8
        .value_kind:     by_value
      - .offset:         40
        .size:           8
        .value_kind:     by_value
      - .offset:         48
        .size:           8
        .value_kind:     by_value
      - .address_space:  global
        .offset:         56
        .size:           8
        .value_kind:     global_buffer
      - .offset:         64
        .size:           8
        .value_kind:     by_value
      - .offset:         72
        .size:           8
        .value_kind:     by_value
      - .offset:         80
        .size:           8
        .value_kind:     by_value
      - .offset:         88
        .size:           8
        .value_kind:     by_value
      - .offset:         96
        .size:           8
        .value_kind:     by_value
      - .address_space:  global
        .offset:         104
        .size:           8
        .value_kind:     global_buffer
      - .offset:         112
        .size:           8
        .value_kind:     by_value
      - .offset:         120
        .size:           8
        .value_kind:     by_value
      - .offset:         128
        .size:           8
        .value_kind:     by_value
      - .offset:         136
        .size:           4
        .value_kind:     by_value
      - .offset:         144
        .size:           4
        .value_kind:     hidden_block_count_x
      - .offset:         148
        .size:           4
        .value_kind:     hidden_block_count_y
      - .offset:         152
        .size:           4
        .value_kind:     hidden_block_count_z
      - .offset:         156
        .size:           2
        .value_kind:     hidden_group_size_x
      - .offset:         158
        .size:           2
        .value_kind:     hidden_group_size_y
      - .offset:         160
        .size:           2
        .value_kind:     hidden_group_size_z
      - .offset:         162
        .size:           2
        .value_kind:     hidden_remainder_x
      - .offset:         164
        .size:           2
        .value_kind:     hidden_remainder_y
      - .offset:         166
        .size:           2
        .value_kind:     hidden_remainder_z
      - .offset:         184
        .size:           8
        .value_kind:     hidden_global_offset_x
      - .offset:         192
        .size:           8
        .value_kind:     hidden_global_offset_y
      - .offset:         200
        .size:           8
        .value_kind:     hidden_global_offset_z
      - .offset:         208
        .size:           2
        .value_kind:     hidden_grid_dims
    .group_segment_fixed_size: 8192
    .kernarg_segment_align: 8
    .kernarg_segment_size: 400
    .language:       OpenCL C
    .language_version:
      - 2
      - 0
    .max_flat_workgroup_size: 1024
    .name:           _ZL19rocblas_sbmv_kernelILb0ELi64ELi16EdPKdPdEviiT2_lT3_lllS4_lllS3_lT4_llli
    .private_segment_fixed_size: 0
    .sgpr_count:     48
    .sgpr_spill_count: 0
    .symbol:         _ZL19rocblas_sbmv_kernelILb0ELi64ELi16EdPKdPdEviiT2_lT3_lllS4_lllS3_lT4_llli.kd
    .uniform_work_group_size: 1
    .uses_dynamic_stack: false
    .vgpr_count:     32
    .vgpr_spill_count: 0
    .wavefront_size: 32
  - .args:
      - .offset:         0
        .size:           4
        .value_kind:     by_value
      - .offset:         4
        .size:           4
        .value_kind:     by_value
      - .address_space:  global
        .offset:         8
        .size:           8
        .value_kind:     global_buffer
      - .offset:         16
        .size:           8
        .value_kind:     by_value
      - .address_space:  global
        .offset:         24
        .size:           8
        .value_kind:     global_buffer
      - .offset:         32
        .size:           8
        .value_kind:     by_value
      - .offset:         40
        .size:           8
        .value_kind:     by_value
      - .offset:         48
        .size:           8
        .value_kind:     by_value
      - .address_space:  global
        .offset:         56
        .size:           8
        .value_kind:     global_buffer
      - .offset:         64
        .size:           8
        .value_kind:     by_value
      - .offset:         72
        .size:           8
        .value_kind:     by_value
      - .offset:         80
        .size:           8
        .value_kind:     by_value
      - .address_space:  global
        .offset:         88
        .size:           8
        .value_kind:     global_buffer
      - .offset:         96
        .size:           8
        .value_kind:     by_value
      - .address_space:  global
        .offset:         104
        .size:           8
        .value_kind:     global_buffer
      - .offset:         112
        .size:           8
        .value_kind:     by_value
      - .offset:         120
        .size:           8
        .value_kind:     by_value
      - .offset:         128
        .size:           8
        .value_kind:     by_value
      - .offset:         136
        .size:           4
        .value_kind:     by_value
      - .offset:         144
        .size:           4
        .value_kind:     hidden_block_count_x
      - .offset:         148
        .size:           4
        .value_kind:     hidden_block_count_y
      - .offset:         152
        .size:           4
        .value_kind:     hidden_block_count_z
      - .offset:         156
        .size:           2
        .value_kind:     hidden_group_size_x
      - .offset:         158
        .size:           2
        .value_kind:     hidden_group_size_y
      - .offset:         160
        .size:           2
        .value_kind:     hidden_group_size_z
      - .offset:         162
        .size:           2
        .value_kind:     hidden_remainder_x
      - .offset:         164
        .size:           2
        .value_kind:     hidden_remainder_y
      - .offset:         166
        .size:           2
        .value_kind:     hidden_remainder_z
      - .offset:         184
        .size:           8
        .value_kind:     hidden_global_offset_x
      - .offset:         192
        .size:           8
        .value_kind:     hidden_global_offset_y
      - .offset:         200
        .size:           8
        .value_kind:     hidden_global_offset_z
      - .offset:         208
        .size:           2
        .value_kind:     hidden_grid_dims
    .group_segment_fixed_size: 4096
    .kernarg_segment_align: 8
    .kernarg_segment_size: 400
    .language:       OpenCL C
    .language_version:
      - 2
      - 0
    .max_flat_workgroup_size: 1024
    .name:           _ZL19rocblas_sbmv_kernelILb1ELi64ELi16EPKfPKS1_PKPfEviiT2_lT3_lllS8_lllS7_lT4_llli
    .private_segment_fixed_size: 0
    .sgpr_count:     43
    .sgpr_spill_count: 0
    .symbol:         _ZL19rocblas_sbmv_kernelILb1ELi64ELi16EPKfPKS1_PKPfEviiT2_lT3_lllS8_lllS7_lT4_llli.kd
    .uniform_work_group_size: 1
    .uses_dynamic_stack: false
    .vgpr_count:     34
    .vgpr_spill_count: 0
    .wavefront_size: 32
  - .args:
      - .offset:         0
        .size:           4
        .value_kind:     by_value
      - .offset:         4
        .size:           4
        .value_kind:     by_value
      - .address_space:  global
        .offset:         8
        .size:           8
        .value_kind:     global_buffer
      - .offset:         16
        .size:           8
        .value_kind:     by_value
      - .address_space:  global
        .offset:         24
        .size:           8
        .value_kind:     global_buffer
      - .offset:         32
        .size:           8
        .value_kind:     by_value
      - .offset:         40
        .size:           8
        .value_kind:     by_value
      - .offset:         48
        .size:           8
        .value_kind:     by_value
      - .address_space:  global
        .offset:         56
        .size:           8
        .value_kind:     global_buffer
      - .offset:         64
        .size:           8
        .value_kind:     by_value
      - .offset:         72
        .size:           8
        .value_kind:     by_value
      - .offset:         80
        .size:           8
        .value_kind:     by_value
      - .address_space:  global
        .offset:         88
        .size:           8
        .value_kind:     global_buffer
      - .offset:         96
        .size:           8
        .value_kind:     by_value
      - .address_space:  global
        .offset:         104
        .size:           8
        .value_kind:     global_buffer
      - .offset:         112
        .size:           8
        .value_kind:     by_value
      - .offset:         120
        .size:           8
        .value_kind:     by_value
      - .offset:         128
        .size:           8
        .value_kind:     by_value
      - .offset:         136
        .size:           4
        .value_kind:     by_value
      - .offset:         144
        .size:           4
        .value_kind:     hidden_block_count_x
      - .offset:         148
        .size:           4
        .value_kind:     hidden_block_count_y
      - .offset:         152
        .size:           4
        .value_kind:     hidden_block_count_z
      - .offset:         156
        .size:           2
        .value_kind:     hidden_group_size_x
      - .offset:         158
        .size:           2
        .value_kind:     hidden_group_size_y
      - .offset:         160
        .size:           2
        .value_kind:     hidden_group_size_z
      - .offset:         162
        .size:           2
        .value_kind:     hidden_remainder_x
      - .offset:         164
        .size:           2
        .value_kind:     hidden_remainder_y
      - .offset:         166
        .size:           2
        .value_kind:     hidden_remainder_z
      - .offset:         184
        .size:           8
        .value_kind:     hidden_global_offset_x
      - .offset:         192
        .size:           8
        .value_kind:     hidden_global_offset_y
      - .offset:         200
        .size:           8
        .value_kind:     hidden_global_offset_z
      - .offset:         208
        .size:           2
        .value_kind:     hidden_grid_dims
    .group_segment_fixed_size: 4096
    .kernarg_segment_align: 8
    .kernarg_segment_size: 400
    .language:       OpenCL C
    .language_version:
      - 2
      - 0
    .max_flat_workgroup_size: 1024
    .name:           _ZL19rocblas_sbmv_kernelILb0ELi64ELi16EPKfPKS1_PKPfEviiT2_lT3_lllS8_lllS7_lT4_llli
    .private_segment_fixed_size: 0
    .sgpr_count:     44
    .sgpr_spill_count: 0
    .symbol:         _ZL19rocblas_sbmv_kernelILb0ELi64ELi16EPKfPKS1_PKPfEviiT2_lT3_lllS8_lllS7_lT4_llli.kd
    .uniform_work_group_size: 1
    .uses_dynamic_stack: false
    .vgpr_count:     33
    .vgpr_spill_count: 0
    .wavefront_size: 32
  - .args:
      - .offset:         0
        .size:           4
        .value_kind:     by_value
      - .offset:         4
        .size:           4
        .value_kind:     by_value
      - .offset:         8
        .size:           4
        .value_kind:     by_value
      - .offset:         16
        .size:           8
        .value_kind:     by_value
      - .address_space:  global
        .offset:         24
        .size:           8
        .value_kind:     global_buffer
      - .offset:         32
        .size:           8
        .value_kind:     by_value
      - .offset:         40
        .size:           8
        .value_kind:     by_value
      - .offset:         48
        .size:           8
        .value_kind:     by_value
      - .address_space:  global
        .offset:         56
        .size:           8
        .value_kind:     global_buffer
      - .offset:         64
        .size:           8
        .value_kind:     by_value
      - .offset:         72
        .size:           8
        .value_kind:     by_value
      - .offset:         80
        .size:           8
        .value_kind:     by_value
      - .offset:         88
        .size:           4
        .value_kind:     by_value
      - .offset:         96
        .size:           8
        .value_kind:     by_value
      - .address_space:  global
        .offset:         104
        .size:           8
        .value_kind:     global_buffer
      - .offset:         112
        .size:           8
        .value_kind:     by_value
      - .offset:         120
        .size:           8
        .value_kind:     by_value
      - .offset:         128
        .size:           8
        .value_kind:     by_value
      - .offset:         136
        .size:           4
        .value_kind:     by_value
      - .offset:         144
        .size:           4
        .value_kind:     hidden_block_count_x
      - .offset:         148
        .size:           4
        .value_kind:     hidden_block_count_y
      - .offset:         152
        .size:           4
        .value_kind:     hidden_block_count_z
      - .offset:         156
        .size:           2
        .value_kind:     hidden_group_size_x
      - .offset:         158
        .size:           2
        .value_kind:     hidden_group_size_y
      - .offset:         160
        .size:           2
        .value_kind:     hidden_group_size_z
      - .offset:         162
        .size:           2
        .value_kind:     hidden_remainder_x
      - .offset:         164
        .size:           2
        .value_kind:     hidden_remainder_y
      - .offset:         166
        .size:           2
        .value_kind:     hidden_remainder_z
      - .offset:         184
        .size:           8
        .value_kind:     hidden_global_offset_x
      - .offset:         192
        .size:           8
        .value_kind:     hidden_global_offset_y
      - .offset:         200
        .size:           8
        .value_kind:     hidden_global_offset_z
      - .offset:         208
        .size:           2
        .value_kind:     hidden_grid_dims
    .group_segment_fixed_size: 4096
    .kernarg_segment_align: 8
    .kernarg_segment_size: 400
    .language:       OpenCL C
    .language_version:
      - 2
      - 0
    .max_flat_workgroup_size: 1024
    .name:           _ZL19rocblas_sbmv_kernelILb1ELi64ELi16EfPKPKfPKPfEviiT2_lT3_lllS8_lllS7_lT4_llli
    .private_segment_fixed_size: 0
    .sgpr_count:     39
    .sgpr_spill_count: 0
    .symbol:         _ZL19rocblas_sbmv_kernelILb1ELi64ELi16EfPKPKfPKPfEviiT2_lT3_lllS8_lllS7_lT4_llli.kd
    .uniform_work_group_size: 1
    .uses_dynamic_stack: false
    .vgpr_count:     34
    .vgpr_spill_count: 0
    .wavefront_size: 32
  - .args:
      - .offset:         0
        .size:           4
        .value_kind:     by_value
      - .offset:         4
        .size:           4
        .value_kind:     by_value
      - .offset:         8
        .size:           4
        .value_kind:     by_value
      - .offset:         16
        .size:           8
        .value_kind:     by_value
      - .address_space:  global
        .offset:         24
        .size:           8
        .value_kind:     global_buffer
      - .offset:         32
        .size:           8
        .value_kind:     by_value
      - .offset:         40
        .size:           8
        .value_kind:     by_value
      - .offset:         48
        .size:           8
        .value_kind:     by_value
      - .address_space:  global
        .offset:         56
        .size:           8
        .value_kind:     global_buffer
      - .offset:         64
        .size:           8
        .value_kind:     by_value
      - .offset:         72
        .size:           8
        .value_kind:     by_value
      - .offset:         80
        .size:           8
        .value_kind:     by_value
      - .offset:         88
        .size:           4
        .value_kind:     by_value
      - .offset:         96
        .size:           8
        .value_kind:     by_value
      - .address_space:  global
        .offset:         104
        .size:           8
        .value_kind:     global_buffer
      - .offset:         112
        .size:           8
        .value_kind:     by_value
      - .offset:         120
        .size:           8
        .value_kind:     by_value
      - .offset:         128
        .size:           8
        .value_kind:     by_value
      - .offset:         136
        .size:           4
        .value_kind:     by_value
      - .offset:         144
        .size:           4
        .value_kind:     hidden_block_count_x
      - .offset:         148
        .size:           4
        .value_kind:     hidden_block_count_y
      - .offset:         152
        .size:           4
        .value_kind:     hidden_block_count_z
      - .offset:         156
        .size:           2
        .value_kind:     hidden_group_size_x
      - .offset:         158
        .size:           2
        .value_kind:     hidden_group_size_y
      - .offset:         160
        .size:           2
        .value_kind:     hidden_group_size_z
      - .offset:         162
        .size:           2
        .value_kind:     hidden_remainder_x
      - .offset:         164
        .size:           2
        .value_kind:     hidden_remainder_y
      - .offset:         166
        .size:           2
        .value_kind:     hidden_remainder_z
      - .offset:         184
        .size:           8
        .value_kind:     hidden_global_offset_x
      - .offset:         192
        .size:           8
        .value_kind:     hidden_global_offset_y
      - .offset:         200
        .size:           8
        .value_kind:     hidden_global_offset_z
      - .offset:         208
        .size:           2
        .value_kind:     hidden_grid_dims
    .group_segment_fixed_size: 4096
    .kernarg_segment_align: 8
    .kernarg_segment_size: 400
    .language:       OpenCL C
    .language_version:
      - 2
      - 0
    .max_flat_workgroup_size: 1024
    .name:           _ZL19rocblas_sbmv_kernelILb0ELi64ELi16EfPKPKfPKPfEviiT2_lT3_lllS8_lllS7_lT4_llli
    .private_segment_fixed_size: 0
    .sgpr_count:     40
    .sgpr_spill_count: 0
    .symbol:         _ZL19rocblas_sbmv_kernelILb0ELi64ELi16EfPKPKfPKPfEviiT2_lT3_lllS8_lllS7_lT4_llli.kd
    .uniform_work_group_size: 1
    .uses_dynamic_stack: false
    .vgpr_count:     33
    .vgpr_spill_count: 0
    .wavefront_size: 32
  - .args:
      - .offset:         0
        .size:           4
        .value_kind:     by_value
      - .offset:         4
        .size:           4
        .value_kind:     by_value
      - .address_space:  global
        .offset:         8
        .size:           8
        .value_kind:     global_buffer
      - .offset:         16
        .size:           8
        .value_kind:     by_value
      - .address_space:  global
        .offset:         24
        .size:           8
        .value_kind:     global_buffer
      - .offset:         32
        .size:           8
        .value_kind:     by_value
      - .offset:         40
        .size:           8
        .value_kind:     by_value
      - .offset:         48
        .size:           8
        .value_kind:     by_value
      - .address_space:  global
        .offset:         56
        .size:           8
        .value_kind:     global_buffer
      - .offset:         64
        .size:           8
        .value_kind:     by_value
      - .offset:         72
        .size:           8
        .value_kind:     by_value
      - .offset:         80
        .size:           8
        .value_kind:     by_value
      - .address_space:  global
        .offset:         88
        .size:           8
        .value_kind:     global_buffer
      - .offset:         96
        .size:           8
        .value_kind:     by_value
      - .address_space:  global
        .offset:         104
        .size:           8
        .value_kind:     global_buffer
      - .offset:         112
        .size:           8
        .value_kind:     by_value
      - .offset:         120
        .size:           8
        .value_kind:     by_value
      - .offset:         128
        .size:           8
        .value_kind:     by_value
      - .offset:         136
        .size:           4
        .value_kind:     by_value
      - .offset:         144
        .size:           4
        .value_kind:     hidden_block_count_x
      - .offset:         148
        .size:           4
        .value_kind:     hidden_block_count_y
      - .offset:         152
        .size:           4
        .value_kind:     hidden_block_count_z
      - .offset:         156
        .size:           2
        .value_kind:     hidden_group_size_x
      - .offset:         158
        .size:           2
        .value_kind:     hidden_group_size_y
      - .offset:         160
        .size:           2
        .value_kind:     hidden_group_size_z
      - .offset:         162
        .size:           2
        .value_kind:     hidden_remainder_x
      - .offset:         164
        .size:           2
        .value_kind:     hidden_remainder_y
      - .offset:         166
        .size:           2
        .value_kind:     hidden_remainder_z
      - .offset:         184
        .size:           8
        .value_kind:     hidden_global_offset_x
      - .offset:         192
        .size:           8
        .value_kind:     hidden_global_offset_y
      - .offset:         200
        .size:           8
        .value_kind:     hidden_global_offset_z
      - .offset:         208
        .size:           2
        .value_kind:     hidden_grid_dims
    .group_segment_fixed_size: 8192
    .kernarg_segment_align: 8
    .kernarg_segment_size: 400
    .language:       OpenCL C
    .language_version:
      - 2
      - 0
    .max_flat_workgroup_size: 1024
    .name:           _ZL19rocblas_sbmv_kernelILb1ELi64ELi16EPKdPKS1_PKPdEviiT2_lT3_lllS8_lllS7_lT4_llli
    .private_segment_fixed_size: 0
    .sgpr_count:     42
    .sgpr_spill_count: 0
    .symbol:         _ZL19rocblas_sbmv_kernelILb1ELi64ELi16EPKdPKS1_PKPdEviiT2_lT3_lllS8_lllS7_lT4_llli.kd
    .uniform_work_group_size: 1
    .uses_dynamic_stack: false
    .vgpr_count:     40
    .vgpr_spill_count: 0
    .wavefront_size: 32
  - .args:
      - .offset:         0
        .size:           4
        .value_kind:     by_value
      - .offset:         4
        .size:           4
        .value_kind:     by_value
      - .address_space:  global
        .offset:         8
        .size:           8
        .value_kind:     global_buffer
      - .offset:         16
        .size:           8
        .value_kind:     by_value
      - .address_space:  global
        .offset:         24
        .size:           8
        .value_kind:     global_buffer
      - .offset:         32
        .size:           8
        .value_kind:     by_value
      - .offset:         40
        .size:           8
        .value_kind:     by_value
      - .offset:         48
        .size:           8
        .value_kind:     by_value
      - .address_space:  global
        .offset:         56
        .size:           8
        .value_kind:     global_buffer
      - .offset:         64
        .size:           8
        .value_kind:     by_value
      - .offset:         72
        .size:           8
        .value_kind:     by_value
      - .offset:         80
        .size:           8
        .value_kind:     by_value
      - .address_space:  global
        .offset:         88
        .size:           8
        .value_kind:     global_buffer
      - .offset:         96
        .size:           8
        .value_kind:     by_value
      - .address_space:  global
        .offset:         104
        .size:           8
        .value_kind:     global_buffer
      - .offset:         112
        .size:           8
        .value_kind:     by_value
      - .offset:         120
        .size:           8
        .value_kind:     by_value
      - .offset:         128
        .size:           8
        .value_kind:     by_value
      - .offset:         136
        .size:           4
        .value_kind:     by_value
      - .offset:         144
        .size:           4
        .value_kind:     hidden_block_count_x
      - .offset:         148
        .size:           4
        .value_kind:     hidden_block_count_y
      - .offset:         152
        .size:           4
        .value_kind:     hidden_block_count_z
      - .offset:         156
        .size:           2
        .value_kind:     hidden_group_size_x
      - .offset:         158
        .size:           2
        .value_kind:     hidden_group_size_y
      - .offset:         160
        .size:           2
        .value_kind:     hidden_group_size_z
      - .offset:         162
        .size:           2
        .value_kind:     hidden_remainder_x
      - .offset:         164
        .size:           2
        .value_kind:     hidden_remainder_y
      - .offset:         166
        .size:           2
        .value_kind:     hidden_remainder_z
      - .offset:         184
        .size:           8
        .value_kind:     hidden_global_offset_x
      - .offset:         192
        .size:           8
        .value_kind:     hidden_global_offset_y
      - .offset:         200
        .size:           8
        .value_kind:     hidden_global_offset_z
      - .offset:         208
        .size:           2
        .value_kind:     hidden_grid_dims
    .group_segment_fixed_size: 8192
    .kernarg_segment_align: 8
    .kernarg_segment_size: 400
    .language:       OpenCL C
    .language_version:
      - 2
      - 0
    .max_flat_workgroup_size: 1024
    .name:           _ZL19rocblas_sbmv_kernelILb0ELi64ELi16EPKdPKS1_PKPdEviiT2_lT3_lllS8_lllS7_lT4_llli
    .private_segment_fixed_size: 0
    .sgpr_count:     43
    .sgpr_spill_count: 0
    .symbol:         _ZL19rocblas_sbmv_kernelILb0ELi64ELi16EPKdPKS1_PKPdEviiT2_lT3_lllS8_lllS7_lT4_llli.kd
    .uniform_work_group_size: 1
    .uses_dynamic_stack: false
    .vgpr_count:     40
    .vgpr_spill_count: 0
    .wavefront_size: 32
  - .args:
      - .offset:         0
        .size:           4
        .value_kind:     by_value
      - .offset:         4
        .size:           4
        .value_kind:     by_value
      - .offset:         8
        .size:           8
        .value_kind:     by_value
      - .offset:         16
        .size:           8
        .value_kind:     by_value
      - .address_space:  global
        .offset:         24
        .size:           8
        .value_kind:     global_buffer
      - .offset:         32
        .size:           8
        .value_kind:     by_value
      - .offset:         40
        .size:           8
        .value_kind:     by_value
      - .offset:         48
        .size:           8
        .value_kind:     by_value
      - .address_space:  global
        .offset:         56
        .size:           8
        .value_kind:     global_buffer
      - .offset:         64
        .size:           8
        .value_kind:     by_value
      - .offset:         72
        .size:           8
        .value_kind:     by_value
      - .offset:         80
        .size:           8
        .value_kind:     by_value
      - .offset:         88
        .size:           8
        .value_kind:     by_value
      - .offset:         96
        .size:           8
        .value_kind:     by_value
      - .address_space:  global
        .offset:         104
        .size:           8
        .value_kind:     global_buffer
      - .offset:         112
        .size:           8
        .value_kind:     by_value
      - .offset:         120
        .size:           8
        .value_kind:     by_value
      - .offset:         128
        .size:           8
        .value_kind:     by_value
      - .offset:         136
        .size:           4
        .value_kind:     by_value
      - .offset:         144
        .size:           4
        .value_kind:     hidden_block_count_x
      - .offset:         148
        .size:           4
        .value_kind:     hidden_block_count_y
      - .offset:         152
        .size:           4
        .value_kind:     hidden_block_count_z
      - .offset:         156
        .size:           2
        .value_kind:     hidden_group_size_x
      - .offset:         158
        .size:           2
        .value_kind:     hidden_group_size_y
      - .offset:         160
        .size:           2
        .value_kind:     hidden_group_size_z
      - .offset:         162
        .size:           2
        .value_kind:     hidden_remainder_x
      - .offset:         164
        .size:           2
        .value_kind:     hidden_remainder_y
      - .offset:         166
        .size:           2
        .value_kind:     hidden_remainder_z
      - .offset:         184
        .size:           8
        .value_kind:     hidden_global_offset_x
      - .offset:         192
        .size:           8
        .value_kind:     hidden_global_offset_y
      - .offset:         200
        .size:           8
        .value_kind:     hidden_global_offset_z
      - .offset:         208
        .size:           2
        .value_kind:     hidden_grid_dims
    .group_segment_fixed_size: 8192
    .kernarg_segment_align: 8
    .kernarg_segment_size: 400
    .language:       OpenCL C
    .language_version:
      - 2
      - 0
    .max_flat_workgroup_size: 1024
    .name:           _ZL19rocblas_sbmv_kernelILb1ELi64ELi16EdPKPKdPKPdEviiT2_lT3_lllS8_lllS7_lT4_llli
    .private_segment_fixed_size: 0
    .sgpr_count:     41
    .sgpr_spill_count: 0
    .symbol:         _ZL19rocblas_sbmv_kernelILb1ELi64ELi16EdPKPKdPKPdEviiT2_lT3_lllS8_lllS7_lT4_llli.kd
    .uniform_work_group_size: 1
    .uses_dynamic_stack: false
    .vgpr_count:     38
    .vgpr_spill_count: 0
    .wavefront_size: 32
  - .args:
      - .offset:         0
        .size:           4
        .value_kind:     by_value
      - .offset:         4
        .size:           4
        .value_kind:     by_value
      - .offset:         8
        .size:           8
        .value_kind:     by_value
      - .offset:         16
        .size:           8
        .value_kind:     by_value
      - .address_space:  global
        .offset:         24
        .size:           8
        .value_kind:     global_buffer
      - .offset:         32
        .size:           8
        .value_kind:     by_value
      - .offset:         40
        .size:           8
        .value_kind:     by_value
      - .offset:         48
        .size:           8
        .value_kind:     by_value
      - .address_space:  global
        .offset:         56
        .size:           8
        .value_kind:     global_buffer
      - .offset:         64
        .size:           8
        .value_kind:     by_value
      - .offset:         72
        .size:           8
        .value_kind:     by_value
      - .offset:         80
        .size:           8
        .value_kind:     by_value
      - .offset:         88
        .size:           8
        .value_kind:     by_value
      - .offset:         96
        .size:           8
        .value_kind:     by_value
      - .address_space:  global
        .offset:         104
        .size:           8
        .value_kind:     global_buffer
      - .offset:         112
        .size:           8
        .value_kind:     by_value
      - .offset:         120
        .size:           8
        .value_kind:     by_value
      - .offset:         128
        .size:           8
        .value_kind:     by_value
      - .offset:         136
        .size:           4
        .value_kind:     by_value
      - .offset:         144
        .size:           4
        .value_kind:     hidden_block_count_x
      - .offset:         148
        .size:           4
        .value_kind:     hidden_block_count_y
      - .offset:         152
        .size:           4
        .value_kind:     hidden_block_count_z
      - .offset:         156
        .size:           2
        .value_kind:     hidden_group_size_x
      - .offset:         158
        .size:           2
        .value_kind:     hidden_group_size_y
      - .offset:         160
        .size:           2
        .value_kind:     hidden_group_size_z
      - .offset:         162
        .size:           2
        .value_kind:     hidden_remainder_x
      - .offset:         164
        .size:           2
        .value_kind:     hidden_remainder_y
      - .offset:         166
        .size:           2
        .value_kind:     hidden_remainder_z
      - .offset:         184
        .size:           8
        .value_kind:     hidden_global_offset_x
      - .offset:         192
        .size:           8
        .value_kind:     hidden_global_offset_y
      - .offset:         200
        .size:           8
        .value_kind:     hidden_global_offset_z
      - .offset:         208
        .size:           2
        .value_kind:     hidden_grid_dims
    .group_segment_fixed_size: 8192
    .kernarg_segment_align: 8
    .kernarg_segment_size: 400
    .language:       OpenCL C
    .language_version:
      - 2
      - 0
    .max_flat_workgroup_size: 1024
    .name:           _ZL19rocblas_sbmv_kernelILb0ELi64ELi16EdPKPKdPKPdEviiT2_lT3_lllS8_lllS7_lT4_llli
    .private_segment_fixed_size: 0
    .sgpr_count:     42
    .sgpr_spill_count: 0
    .symbol:         _ZL19rocblas_sbmv_kernelILb0ELi64ELi16EdPKPKdPKPdEviiT2_lT3_lllS8_lllS7_lT4_llli.kd
    .uniform_work_group_size: 1
    .uses_dynamic_stack: false
    .vgpr_count:     36
    .vgpr_spill_count: 0
    .wavefront_size: 32
amdhsa.target:   amdgcn-amd-amdhsa--gfx1250
amdhsa.version:
  - 1
  - 2
...

	.end_amdgpu_metadata
